;; amdgpu-corpus repo=ROCm/rocFFT kind=compiled arch=gfx906 opt=O3
	.text
	.amdgcn_target "amdgcn-amd-amdhsa--gfx906"
	.amdhsa_code_object_version 6
	.protected	bluestein_single_back_len1088_dim1_half_op_CI_CI ; -- Begin function bluestein_single_back_len1088_dim1_half_op_CI_CI
	.globl	bluestein_single_back_len1088_dim1_half_op_CI_CI
	.p2align	8
	.type	bluestein_single_back_len1088_dim1_half_op_CI_CI,@function
bluestein_single_back_len1088_dim1_half_op_CI_CI: ; @bluestein_single_back_len1088_dim1_half_op_CI_CI
; %bb.0:
	v_mul_u32_u24_e32 v1, 0x3c4, v0
	s_load_dwordx4 s[0:3], s[4:5], 0x28
	v_lshrrev_b32_e32 v1, 16, v1
	v_mad_u64_u32 v[21:22], s[6:7], s6, 3, v[1:2]
	v_mov_b32_e32 v22, 0
	s_waitcnt lgkmcnt(0)
	v_cmp_gt_u64_e32 vcc, s[0:1], v[21:22]
	s_and_saveexec_b64 s[0:1], vcc
	s_cbranch_execz .LBB0_15
; %bb.1:
	s_mov_b32 s0, 0xaaaaaaab
	v_mul_hi_u32 v2, v21, s0
	v_mul_lo_u16_e32 v1, 0x44, v1
	v_sub_u16_e32 v38, v0, v1
	s_load_dwordx2 s[6:7], s[4:5], 0x0
	s_load_dwordx2 s[12:13], s[4:5], 0x38
	v_lshrrev_b32_e32 v0, 1, v2
	v_lshl_add_u32 v0, v0, 1, v0
	v_sub_u32_e32 v0, v21, v0
	v_mul_u32_u24_e32 v41, 0x440, v0
	v_or_b32_e32 v0, v41, v38
	v_cmp_gt_u16_e32 vcc, 64, v38
	v_lshlrev_b32_e32 v39, 2, v38
	v_lshlrev_b32_e32 v42, 2, v0
	v_or_b32_e32 v40, 64, v38
	s_and_saveexec_b64 s[14:15], vcc
	s_cbranch_execz .LBB0_3
; %bb.2:
	s_load_dwordx2 s[0:1], s[4:5], 0x18
	v_mov_b32_e32 v8, s3
	v_or_b32_e32 v20, 0x1c0, v38
	v_or_b32_e32 v27, 0x400, v38
	;; [unrolled: 1-line block ×3, first 2 shown]
	s_waitcnt lgkmcnt(0)
	s_load_dwordx4 s[8:11], s[0:1], 0x0
	s_waitcnt lgkmcnt(0)
	v_mad_u64_u32 v[0:1], s[0:1], s10, v21, 0
	v_mad_u64_u32 v[2:3], s[0:1], s8, v38, 0
	;; [unrolled: 1-line block ×5, first 2 shown]
	v_mov_b32_e32 v1, v4
	v_lshlrev_b64 v[0:1], 2, v[0:1]
	v_mov_b32_e32 v3, v5
	v_add_co_u32_e64 v10, s[0:1], s2, v0
	v_mov_b32_e32 v0, v7
	v_addc_co_u32_e64 v11, s[0:1], v8, v1, s[0:1]
	v_mad_u64_u32 v[0:1], s[0:1], s9, v40, v[0:1]
	v_lshlrev_b64 v[2:3], 2, v[2:3]
	v_or_b32_e32 v8, 0x180, v38
	v_add_co_u32_e64 v1, s[0:1], v10, v2
	v_mov_b32_e32 v7, v0
	v_addc_co_u32_e64 v2, s[0:1], v11, v3, s[0:1]
	v_lshlrev_b64 v[3:4], 2, v[6:7]
	v_or_b32_e32 v7, 0x80, v38
	v_mad_u64_u32 v[5:6], s[0:1], s8, v7, 0
	v_add_co_u32_e64 v3, s[0:1], v10, v3
	v_mov_b32_e32 v0, v6
	v_addc_co_u32_e64 v4, s[0:1], v11, v4, s[0:1]
	global_load_dword v12, v[1:2], off
	global_load_dword v13, v[3:4], off
	v_mad_u64_u32 v[0:1], s[0:1], s9, v7, v[0:1]
	v_or_b32_e32 v7, 0xc0, v38
	v_mad_u64_u32 v[1:2], s[0:1], s8, v7, 0
	global_load_dword v14, v39, s[6:7]
	global_load_dword v15, v39, s[6:7] offset:256
	v_mov_b32_e32 v6, v0
	v_lshlrev_b64 v[3:4], 2, v[5:6]
	v_mov_b32_e32 v0, v2
	v_mad_u64_u32 v[5:6], s[0:1], s9, v7, v[0:1]
	v_add_co_u32_e64 v2, s[0:1], v10, v3
	v_addc_co_u32_e64 v3, s[0:1], v11, v4, s[0:1]
	global_load_dword v16, v[2:3], off
	global_load_dword v17, v39, s[6:7] offset:512
	v_mov_b32_e32 v2, v5
	v_lshlrev_b64 v[0:1], 2, v[1:2]
	v_or_b32_e32 v4, 0x100, v38
	v_add_co_u32_e64 v0, s[0:1], v10, v0
	v_addc_co_u32_e64 v1, s[0:1], v11, v1, s[0:1]
	global_load_dword v18, v[0:1], off
	global_load_dword v19, v39, s[6:7] offset:768
	v_mad_u64_u32 v[2:3], s[0:1], s8, v4, 0
	v_or_b32_e32 v6, 0x140, v38
	v_mov_b32_e32 v0, v3
	v_mad_u64_u32 v[0:1], s[0:1], s9, v4, v[0:1]
	v_mad_u64_u32 v[4:5], s[0:1], s8, v6, 0
	v_mov_b32_e32 v3, v0
	v_lshlrev_b64 v[0:1], 2, v[2:3]
	v_mov_b32_e32 v2, v5
	v_mad_u64_u32 v[2:3], s[0:1], s9, v6, v[2:3]
	v_mad_u64_u32 v[6:7], s[0:1], s8, v8, 0
	v_mov_b32_e32 v5, v2
	v_add_co_u32_e64 v0, s[0:1], v10, v0
	v_lshlrev_b64 v[2:3], 2, v[4:5]
	v_mov_b32_e32 v4, v7
	v_addc_co_u32_e64 v1, s[0:1], v11, v1, s[0:1]
	v_mad_u64_u32 v[4:5], s[0:1], s9, v8, v[4:5]
	v_mad_u64_u32 v[8:9], s[0:1], s8, v20, 0
	v_mov_b32_e32 v7, v4
	v_add_co_u32_e64 v2, s[0:1], v10, v2
	v_lshlrev_b64 v[4:5], 2, v[6:7]
	v_mov_b32_e32 v6, v9
	v_addc_co_u32_e64 v3, s[0:1], v11, v3, s[0:1]
	v_mad_u64_u32 v[6:7], s[0:1], s9, v20, v[6:7]
	v_add_co_u32_e64 v4, s[0:1], v10, v4
	v_mov_b32_e32 v9, v6
	v_lshlrev_b64 v[6:7], 2, v[8:9]
	v_addc_co_u32_e64 v5, s[0:1], v11, v5, s[0:1]
	v_add_co_u32_e64 v6, s[0:1], v10, v6
	v_addc_co_u32_e64 v7, s[0:1], v11, v7, s[0:1]
	global_load_dword v9, v[0:1], off
	global_load_dword v20, v[2:3], off
	;; [unrolled: 1-line block ×4, first 2 shown]
	v_lshlrev_b32_e32 v1, 2, v27
	global_load_dword v24, v39, s[6:7] offset:1024
	global_load_dword v25, v39, s[6:7] offset:1280
	;; [unrolled: 1-line block ×3, first 2 shown]
	global_load_dword v28, v1, s[6:7]
	v_or_b32_e32 v6, 0x240, v38
	v_or_b32_e32 v8, 0x2c0, v38
	s_waitcnt vmcnt(15)
	v_lshrrev_b32_e32 v0, 16, v12
	s_waitcnt vmcnt(13)
	v_mul_f16_sdwa v1, v14, v0 dst_sel:DWORD dst_unused:UNUSED_PAD src0_sel:WORD_1 src1_sel:DWORD
	v_mul_f16_sdwa v2, v14, v12 dst_sel:DWORD dst_unused:UNUSED_PAD src0_sel:WORD_1 src1_sel:DWORD
	v_fma_f16 v1, v14, v12, v1
	v_fma_f16 v0, v14, v0, -v2
	v_pack_b32_f16 v0, v1, v0
	ds_write_b32 v42, v0
	v_lshrrev_b32_e32 v0, 16, v13
	s_waitcnt vmcnt(12)
	v_mul_f16_sdwa v1, v15, v0 dst_sel:DWORD dst_unused:UNUSED_PAD src0_sel:WORD_1 src1_sel:DWORD
	v_mul_f16_sdwa v2, v15, v13 dst_sel:DWORD dst_unused:UNUSED_PAD src0_sel:WORD_1 src1_sel:DWORD
	v_fma_f16 v1, v15, v13, v1
	v_fma_f16 v0, v15, v0, -v2
	v_pack_b32_f16 v0, v1, v0
	s_waitcnt vmcnt(11)
	v_lshrrev_b32_e32 v1, 16, v16
	s_waitcnt vmcnt(10)
	v_mul_f16_sdwa v2, v17, v1 dst_sel:DWORD dst_unused:UNUSED_PAD src0_sel:WORD_1 src1_sel:DWORD
	v_mul_f16_sdwa v3, v17, v16 dst_sel:DWORD dst_unused:UNUSED_PAD src0_sel:WORD_1 src1_sel:DWORD
	v_fma_f16 v2, v17, v16, v2
	v_fma_f16 v1, v17, v1, -v3
	v_lshl_add_u32 v12, v41, 2, v39
	v_pack_b32_f16 v1, v2, v1
	v_or_b32_e32 v2, 0x200, v38
	ds_write2st64_b32 v12, v0, v1 offset0:1 offset1:2
	v_mad_u64_u32 v[0:1], s[0:1], s8, v2, 0
	s_waitcnt vmcnt(9)
	v_lshrrev_b32_e32 v4, 16, v18
	s_waitcnt vmcnt(8)
	v_mul_f16_sdwa v3, v19, v4 dst_sel:DWORD dst_unused:UNUSED_PAD src0_sel:WORD_1 src1_sel:DWORD
	v_mad_u64_u32 v[1:2], s[0:1], s9, v2, v[1:2]
	v_fma_f16 v13, v19, v18, v3
	v_mad_u64_u32 v[2:3], s[0:1], s8, v6, 0
	v_mul_f16_sdwa v5, v19, v18 dst_sel:DWORD dst_unused:UNUSED_PAD src0_sel:WORD_1 src1_sel:DWORD
	v_fma_f16 v14, v19, v4, -v5
	v_mad_u64_u32 v[3:4], s[0:1], s9, v6, v[3:4]
	v_or_b32_e32 v6, 0x280, v38
	v_mad_u64_u32 v[4:5], s[0:1], s8, v6, 0
	v_lshlrev_b64 v[0:1], 2, v[0:1]
	v_lshlrev_b64 v[2:3], 2, v[2:3]
	v_add_co_u32_e64 v0, s[0:1], v10, v0
	v_addc_co_u32_e64 v1, s[0:1], v11, v1, s[0:1]
	v_mad_u64_u32 v[5:6], s[0:1], s9, v6, v[5:6]
	v_add_co_u32_e64 v2, s[0:1], v10, v2
	v_addc_co_u32_e64 v3, s[0:1], v11, v3, s[0:1]
	v_mad_u64_u32 v[6:7], s[0:1], s8, v8, 0
	v_lshlrev_b64 v[4:5], 2, v[4:5]
	v_add_co_u32_e64 v4, s[0:1], v10, v4
	v_addc_co_u32_e64 v5, s[0:1], v11, v5, s[0:1]
	v_mad_u64_u32 v[7:8], s[0:1], s9, v8, v[7:8]
	global_load_dword v15, v[0:1], off
	global_load_dword v16, v[2:3], off
	;; [unrolled: 1-line block ×3, first 2 shown]
	v_or_b32_e32 v4, 0x300, v38
	v_mad_u64_u32 v[2:3], s[0:1], s8, v4, 0
	v_lshlrev_b64 v[0:1], 2, v[6:7]
	v_or_b32_e32 v6, 0x340, v38
	v_add_co_u32_e64 v0, s[0:1], v10, v0
	v_addc_co_u32_e64 v1, s[0:1], v11, v1, s[0:1]
	v_mad_u64_u32 v[3:4], s[0:1], s9, v4, v[3:4]
	v_mad_u64_u32 v[4:5], s[0:1], s8, v6, 0
	v_or_b32_e32 v8, 0x380, v38
	v_lshlrev_b64 v[2:3], 2, v[2:3]
	v_mad_u64_u32 v[5:6], s[0:1], s9, v6, v[5:6]
	v_mad_u64_u32 v[6:7], s[0:1], s8, v8, 0
	global_load_dword v18, v39, s[6:7] offset:1792
	global_load_dword v19, v39, s[6:7] offset:2048
	;; [unrolled: 1-line block ×5, first 2 shown]
	v_add_co_u32_e64 v2, s[0:1], v10, v2
	v_addc_co_u32_e64 v3, s[0:1], v11, v3, s[0:1]
	v_mad_u64_u32 v[7:8], s[0:1], s9, v8, v[7:8]
	v_lshlrev_b64 v[4:5], 2, v[4:5]
	global_load_dword v8, v[0:1], off
	v_add_co_u32_e64 v4, s[0:1], v10, v4
	v_lshlrev_b64 v[6:7], 2, v[6:7]
	v_addc_co_u32_e64 v5, s[0:1], v11, v5, s[0:1]
	v_add_co_u32_e64 v6, s[0:1], v10, v6
	v_addc_co_u32_e64 v7, s[0:1], v11, v7, s[0:1]
	v_mad_u64_u32 v[0:1], s[0:1], s8, v32, 0
	global_load_dword v33, v[2:3], off
	global_load_dword v34, v[4:5], off
	;; [unrolled: 1-line block ×3, first 2 shown]
	global_load_dword v36, v39, s[6:7] offset:3072
	s_nop 0
	global_load_dword v5, v39, s[6:7] offset:3328
	global_load_dword v6, v39, s[6:7] offset:3584
	v_mad_u64_u32 v[1:2], s[0:1], s9, v32, v[1:2]
	v_mad_u64_u32 v[2:3], s[0:1], s8, v27, 0
	v_lshlrev_b64 v[0:1], 2, v[0:1]
	v_mad_u64_u32 v[3:4], s[0:1], s9, v27, v[3:4]
	v_add_co_u32_e64 v0, s[0:1], v10, v0
	v_addc_co_u32_e64 v1, s[0:1], v11, v1, s[0:1]
	global_load_dword v4, v[0:1], off
	global_load_dword v7, v39, s[6:7] offset:3840
	v_lshlrev_b64 v[0:1], 2, v[2:3]
	s_waitcnt vmcnt(24)
	v_lshrrev_b32_e32 v2, 16, v9
	v_add_co_u32_e64 v0, s[0:1], v10, v0
	v_addc_co_u32_e64 v1, s[0:1], v11, v1, s[0:1]
	global_load_dword v0, v[0:1], off
	s_waitcnt vmcnt(21)
	v_mul_f16_sdwa v3, v24, v2 dst_sel:DWORD dst_unused:UNUSED_PAD src0_sel:WORD_1 src1_sel:DWORD
	v_fma_f16 v3, v24, v9, v3
	v_mul_f16_sdwa v9, v24, v9 dst_sel:DWORD dst_unused:UNUSED_PAD src0_sel:WORD_1 src1_sel:DWORD
	v_fma_f16 v2, v24, v2, -v9
	v_pack_b32_f16 v1, v13, v14
	v_pack_b32_f16 v2, v3, v2
	ds_write2st64_b32 v12, v1, v2 offset0:3 offset1:4
	v_lshrrev_b32_e32 v1, 16, v20
	s_waitcnt vmcnt(20)
	v_mul_f16_sdwa v2, v25, v1 dst_sel:DWORD dst_unused:UNUSED_PAD src0_sel:WORD_1 src1_sel:DWORD
	v_mul_f16_sdwa v3, v25, v20 dst_sel:DWORD dst_unused:UNUSED_PAD src0_sel:WORD_1 src1_sel:DWORD
	v_fma_f16 v2, v25, v20, v2
	v_fma_f16 v1, v25, v1, -v3
	v_pack_b32_f16 v1, v2, v1
	v_lshrrev_b32_e32 v2, 16, v22
	s_waitcnt vmcnt(19)
	v_mul_f16_sdwa v3, v26, v2 dst_sel:DWORD dst_unused:UNUSED_PAD src0_sel:WORD_1 src1_sel:DWORD
	v_mul_f16_sdwa v9, v26, v22 dst_sel:DWORD dst_unused:UNUSED_PAD src0_sel:WORD_1 src1_sel:DWORD
	v_fma_f16 v3, v26, v22, v3
	v_fma_f16 v2, v26, v2, -v9
	v_pack_b32_f16 v2, v3, v2
	ds_write2st64_b32 v12, v1, v2 offset0:5 offset1:6
	v_lshrrev_b32_e32 v1, 16, v23
	s_waitcnt vmcnt(14)
	v_mul_f16_sdwa v2, v18, v1 dst_sel:DWORD dst_unused:UNUSED_PAD src0_sel:WORD_1 src1_sel:DWORD
	v_mul_f16_sdwa v3, v18, v23 dst_sel:DWORD dst_unused:UNUSED_PAD src0_sel:WORD_1 src1_sel:DWORD
	v_fma_f16 v2, v18, v23, v2
	v_fma_f16 v1, v18, v1, -v3
	v_pack_b32_f16 v1, v2, v1
	v_lshrrev_b32_e32 v2, 16, v15
	s_waitcnt vmcnt(13)
	v_mul_f16_sdwa v3, v19, v2 dst_sel:DWORD dst_unused:UNUSED_PAD src0_sel:WORD_1 src1_sel:DWORD
	v_mul_f16_sdwa v9, v19, v15 dst_sel:DWORD dst_unused:UNUSED_PAD src0_sel:WORD_1 src1_sel:DWORD
	v_fma_f16 v3, v19, v15, v3
	v_fma_f16 v2, v19, v2, -v9
	;; [unrolled: 15-line block ×3, first 2 shown]
	v_pack_b32_f16 v2, v3, v2
	ds_write2st64_b32 v12, v1, v2 offset0:9 offset1:10
	s_waitcnt vmcnt(9)
	v_lshrrev_b32_e32 v1, 16, v8
	v_mul_f16_sdwa v2, v31, v1 dst_sel:DWORD dst_unused:UNUSED_PAD src0_sel:WORD_1 src1_sel:DWORD
	v_mul_f16_sdwa v3, v31, v8 dst_sel:DWORD dst_unused:UNUSED_PAD src0_sel:WORD_1 src1_sel:DWORD
	v_fma_f16 v2, v31, v8, v2
	v_fma_f16 v1, v31, v1, -v3
	v_pack_b32_f16 v1, v2, v1
	s_waitcnt vmcnt(8)
	v_lshrrev_b32_e32 v2, 16, v33
	s_waitcnt vmcnt(5)
	v_mul_f16_sdwa v3, v36, v2 dst_sel:DWORD dst_unused:UNUSED_PAD src0_sel:WORD_1 src1_sel:DWORD
	v_mul_f16_sdwa v8, v36, v33 dst_sel:DWORD dst_unused:UNUSED_PAD src0_sel:WORD_1 src1_sel:DWORD
	v_fma_f16 v3, v36, v33, v3
	v_fma_f16 v2, v36, v2, -v8
	v_pack_b32_f16 v2, v3, v2
	ds_write2st64_b32 v12, v1, v2 offset0:11 offset1:12
	v_lshrrev_b32_e32 v1, 16, v34
	s_waitcnt vmcnt(4)
	v_mul_f16_sdwa v2, v5, v1 dst_sel:DWORD dst_unused:UNUSED_PAD src0_sel:WORD_1 src1_sel:DWORD
	v_mul_f16_sdwa v3, v5, v34 dst_sel:DWORD dst_unused:UNUSED_PAD src0_sel:WORD_1 src1_sel:DWORD
	v_fma_f16 v2, v5, v34, v2
	v_fma_f16 v1, v5, v1, -v3
	v_pack_b32_f16 v1, v2, v1
	v_lshrrev_b32_e32 v2, 16, v35
	s_waitcnt vmcnt(3)
	v_mul_f16_sdwa v3, v6, v2 dst_sel:DWORD dst_unused:UNUSED_PAD src0_sel:WORD_1 src1_sel:DWORD
	v_mul_f16_sdwa v5, v6, v35 dst_sel:DWORD dst_unused:UNUSED_PAD src0_sel:WORD_1 src1_sel:DWORD
	v_fma_f16 v3, v6, v35, v3
	v_fma_f16 v2, v6, v2, -v5
	v_pack_b32_f16 v2, v3, v2
	ds_write2st64_b32 v12, v1, v2 offset0:13 offset1:14
	s_waitcnt vmcnt(2)
	v_lshrrev_b32_e32 v1, 16, v4
	s_waitcnt vmcnt(1)
	v_mul_f16_sdwa v2, v7, v1 dst_sel:DWORD dst_unused:UNUSED_PAD src0_sel:WORD_1 src1_sel:DWORD
	v_mul_f16_sdwa v3, v7, v4 dst_sel:DWORD dst_unused:UNUSED_PAD src0_sel:WORD_1 src1_sel:DWORD
	v_fma_f16 v2, v7, v4, v2
	v_fma_f16 v1, v7, v1, -v3
	v_pack_b32_f16 v1, v2, v1
	s_waitcnt vmcnt(0)
	v_lshrrev_b32_e32 v2, 16, v0
	v_mul_f16_sdwa v3, v28, v2 dst_sel:DWORD dst_unused:UNUSED_PAD src0_sel:WORD_1 src1_sel:DWORD
	v_fma_f16 v3, v28, v0, v3
	v_mul_f16_sdwa v0, v28, v0 dst_sel:DWORD dst_unused:UNUSED_PAD src0_sel:WORD_1 src1_sel:DWORD
	v_fma_f16 v0, v28, v2, -v0
	v_pack_b32_f16 v0, v3, v0
	ds_write2st64_b32 v12, v1, v0 offset0:15 offset1:16
.LBB0_3:
	s_or_b64 exec, exec, s[14:15]
	s_load_dwordx2 s[0:1], s[4:5], 0x20
	s_load_dwordx2 s[2:3], s[4:5], 0x8
	v_mov_b32_e32 v28, 0
	v_lshlrev_b32_e32 v43, 2, v41
	s_waitcnt lgkmcnt(0)
	s_barrier
	s_waitcnt lgkmcnt(0)
                                        ; implicit-def: $vgpr1
                                        ; implicit-def: $vgpr3
                                        ; implicit-def: $vgpr5
                                        ; implicit-def: $vgpr7
                                        ; implicit-def: $vgpr9
                                        ; implicit-def: $vgpr11
                                        ; implicit-def: $vgpr13
                                        ; implicit-def: $vgpr84
                                        ; implicit-def: $vgpr14
	s_and_saveexec_b64 s[4:5], vcc
	s_cbranch_execz .LBB0_5
; %bb.4:
	v_lshl_add_u32 v0, v38, 2, v43
	ds_read2st64_b32 v[14:15], v0 offset0:1 offset1:2
	ds_read2st64_b32 v[12:13], v0 offset0:3 offset1:4
	;; [unrolled: 1-line block ×8, first 2 shown]
	ds_read_b32 v28, v42
	s_waitcnt lgkmcnt(8)
	v_alignbit_b32 v84, v15, v15, 16
.LBB0_5:
	s_or_b64 exec, exec, s[4:5]
	s_waitcnt lgkmcnt(1)
	v_pk_add_f16 v15, v14, v1 neg_lo:[0,1] neg_hi:[0,1]
	s_mov_b32 s23, 0xb5c8
	v_pk_add_f16 v18, v1, v14
	s_movk_i32 s8, 0x3b76
	v_mul_f16_sdwa v34, v15, s23 dst_sel:DWORD dst_unused:UNUSED_PAD src0_sel:WORD_1 src1_sel:DWORD
	v_lshrrev_b32_e32 v52, 16, v18
	v_mul_f16_e32 v51, 0xb5c8, v15
	v_fma_f16 v16, v18, s8, v34
	s_waitcnt lgkmcnt(0)
	v_add_f16_e32 v17, v16, v28
	v_fma_f16 v16, v52, s8, -v51
	v_add_f16_sdwa v19, v16, v28 dst_sel:DWORD dst_unused:UNUSED_PAD src0_sel:DWORD src1_sel:WORD_1
	v_pk_add_f16 v16, v0, v84 op_sel:[1,0] op_sel_hi:[0,1]
	v_pk_add_f16 v20, v84, v0 op_sel:[1,0] op_sel_hi:[0,1] neg_lo:[0,1] neg_hi:[0,1]
	s_mov_b32 s28, 0xb964
	v_lshrrev_b32_e32 v50, 16, v16
	s_movk_i32 s9, 0x39e9
	v_mul_f16_sdwa v35, v20, s28 dst_sel:DWORD dst_unused:UNUSED_PAD src0_sel:WORD_1 src1_sel:DWORD
	v_mul_f16_e32 v53, 0xb964, v20
	v_fma_f16 v22, v50, s9, v35
	v_add_f16_e32 v22, v22, v17
	v_fma_f16 v17, v16, s9, -v53
	v_add_f16_e32 v19, v17, v19
	v_pk_add_f16 v17, v12, v3 neg_lo:[0,1] neg_hi:[0,1]
	s_mov_b32 s27, 0xbb29
	v_pk_add_f16 v24, v3, v12
	s_movk_i32 s10, 0x3722
	v_mul_f16_sdwa v36, v17, s27 dst_sel:DWORD dst_unused:UNUSED_PAD src0_sel:WORD_1 src1_sel:DWORD
	v_lshrrev_b32_e32 v55, 16, v24
	v_mul_f16_e32 v54, 0xbb29, v17
	v_fma_f16 v23, v24, s10, v36
	v_add_f16_e32 v22, v23, v22
	v_fma_f16 v23, v55, s10, -v54
	v_add_f16_e32 v23, v23, v19
	v_pk_add_f16 v19, v13, v2 neg_lo:[0,1] neg_hi:[0,1]
	s_mov_b32 s26, 0xbbf7
	v_pk_add_f16 v25, v2, v13
	s_movk_i32 s14, 0x2de8
	v_mul_f16_sdwa v37, v19, s26 dst_sel:DWORD dst_unused:UNUSED_PAD src0_sel:WORD_1 src1_sel:DWORD
	v_lshrrev_b32_e32 v58, 16, v25
	v_mul_f16_e32 v57, 0xbbf7, v19
	v_fma_f16 v26, v25, s14, v37
	v_add_f16_e32 v26, v26, v22
	v_fma_f16 v22, v58, s14, -v57
	v_add_f16_e32 v23, v22, v23
	v_pk_add_f16 v22, v10, v5 neg_lo:[0,1] neg_hi:[0,1]
	s_mov_b32 s11, 0xbbb2
	v_pk_add_f16 v27, v5, v10
	s_mov_b32 s15, 0xb461
	v_mul_f16_sdwa v45, v22, s11 dst_sel:DWORD dst_unused:UNUSED_PAD src0_sel:WORD_1 src1_sel:DWORD
	v_fma_f16 v29, v27, s15, v45
	v_lshrrev_b32_e32 v60, 16, v27
	v_mul_f16_e32 v59, 0xbbb2, v22
	v_add_f16_e32 v29, v29, v26
	v_fma_f16 v26, v60, s15, -v59
	v_add_f16_e32 v23, v26, v23
	s_mov_b32 s16, 0xba62
	v_pk_add_f16 v26, v11, v4 neg_lo:[0,1] neg_hi:[0,1]
	s_mov_b32 s17, 0xb8d2
	v_pk_add_f16 v30, v4, v11
	v_mul_f16_sdwa v46, v26, s16 dst_sel:DWORD dst_unused:UNUSED_PAD src0_sel:WORD_1 src1_sel:DWORD
	v_fma_f16 v31, v30, s17, v46
	v_lshrrev_b32_e32 v62, 16, v30
	v_mul_f16_e32 v61, 0xba62, v26
	v_add_f16_e32 v31, v31, v29
	v_fma_f16 v29, v62, s17, -v61
	v_add_f16_e32 v23, v29, v23
	s_mov_b32 s18, 0xb836
	v_pk_add_f16 v29, v8, v7 neg_lo:[0,1] neg_hi:[0,1]
	s_mov_b32 s19, 0xbacd
	v_pk_add_f16 v32, v7, v8
	v_mul_f16_sdwa v49, v29, s18 dst_sel:DWORD dst_unused:UNUSED_PAD src0_sel:WORD_1 src1_sel:DWORD
	v_fma_f16 v33, v32, s19, v49
	v_lshrrev_b32_e32 v66, 16, v32
	v_mul_f16_e32 v63, 0xb836, v29
	v_add_f16_e32 v47, v33, v31
	v_fma_f16 v31, v66, s19, -v63
	v_add_f16_e32 v23, v31, v23
	v_pk_add_f16 v33, v6, v9
	v_pk_add_f16 v31, v9, v6 neg_lo:[0,1] neg_hi:[0,1]
	s_mov_b32 s21, 0xbbdd
	v_lshrrev_b32_e32 v67, 16, v33
	v_mul_f16_e32 v65, 0xb1e1, v31
	s_mov_b32 s20, 0xb1e1
	v_fma_f16 v44, v67, s21, -v65
	v_mul_f16_sdwa v48, v31, s20 dst_sel:DWORD dst_unused:UNUSED_PAD src0_sel:WORD_1 src1_sel:DWORD
	v_add_f16_e32 v44, v44, v23
	v_fma_f16 v23, v33, s21, v48
	v_add_f16_e32 v23, v23, v47
	s_barrier
	s_and_saveexec_b64 s[4:5], vcc
	s_cbranch_execz .LBB0_7
; %bb.6:
	v_mul_f16_sdwa v68, v15, s28 dst_sel:DWORD dst_unused:UNUSED_PAD src0_sel:WORD_1 src1_sel:DWORD
	v_fma_f16 v47, v18, s9, v68
	v_mul_f16_sdwa v69, v20, s26 dst_sel:DWORD dst_unused:UNUSED_PAD src0_sel:WORD_1 src1_sel:DWORD
	v_add_f16_e32 v47, v47, v28
	v_fma_f16 v56, v50, s14, v69
	v_mul_f16_sdwa v70, v17, s16 dst_sel:DWORD dst_unused:UNUSED_PAD src0_sel:WORD_1 src1_sel:DWORD
	v_add_f16_e32 v47, v56, v47
	v_fma_f16 v56, v24, s17, v70
	v_mul_f16_sdwa v71, v19, s20 dst_sel:DWORD dst_unused:UNUSED_PAD src0_sel:WORD_1 src1_sel:DWORD
	s_movk_i32 s31, 0x3836
	v_add_f16_e32 v47, v56, v47
	v_fma_f16 v56, v25, s21, v71
	v_mul_f16_sdwa v72, v22, s31 dst_sel:DWORD dst_unused:UNUSED_PAD src0_sel:WORD_1 src1_sel:DWORD
	s_movk_i32 s29, 0x3bb2
	;; [unrolled: 4-line block ×4, first 2 shown]
	v_add_f16_e32 v47, v56, v47
	v_fma_f16 v56, v32, s10, v74
	v_mul_f16_sdwa v75, v31, s25 dst_sel:DWORD dst_unused:UNUSED_PAD src0_sel:WORD_1 src1_sel:DWORD
	v_add_f16_e32 v47, v56, v47
	v_fma_f16 v56, v33, s8, v75
	v_mul_f16_e32 v76, 0x3722, v52
	v_add_f16_e32 v47, v56, v47
	v_fma_f16 v56, v15, s22, v76
	v_mul_f16_e32 v77, 0xb8d2, v16
	s_movk_i32 s30, 0x3a62
	v_add_f16_sdwa v56, v56, v28 dst_sel:DWORD dst_unused:UNUSED_PAD src0_sel:DWORD src1_sel:WORD_1
	v_fma_f16 v64, v20, s30, v77
	v_mul_f16_e32 v78, 0xbbdd, v55
	v_add_f16_e32 v56, v64, v56
	v_fma_f16 v64, v17, s20, v78
	v_mul_f16_e32 v79, 0xb461, v58
	v_add_f16_e32 v56, v64, v56
	;; [unrolled: 3-line block ×4, first 2 shown]
	v_fma_f16 v64, v26, s25, v81
	v_mul_f16_e32 v82, 0x2de8, v66
	s_movk_i32 s24, 0x3bf7
	v_add_f16_e32 v56, v64, v56
	v_fma_f16 v64, v29, s24, v82
	v_mul_f16_e32 v83, 0xbacd, v67
	v_add_f16_e32 v56, v64, v56
	v_fma_f16 v64, v31, s31, v83
	v_add_f16_e32 v56, v64, v56
	v_alignbit_b32 v64, v28, v28, 16
	v_pk_add_f16 v14, v14, v64 op_sel:[0,1] op_sel_hi:[1,0]
	v_alignbit_b32 v84, v84, v84, 16
	v_pk_add_f16 v14, v84, v14
	v_pk_add_f16 v12, v12, v14
	v_mul_f16_e32 v14, 0x2de8, v52
	v_pk_add_f16 v13, v13, v12
	v_fma_f16 v12, v15, s24, v14
	s_movk_i32 s34, 0x31e1
	v_mul_f16_e32 v84, 0xbbdd, v16
	v_add_f16_sdwa v12, v12, v28 dst_sel:DWORD dst_unused:UNUSED_PAD src0_sel:DWORD src1_sel:WORD_1
	v_fma_f16 v85, v20, s34, v84
	v_add_f16_e32 v12, v85, v12
	v_mul_f16_e32 v85, 0xb461, v55
	v_fma_f16 v86, v17, s11, v85
	v_add_f16_e32 v12, v86, v12
	v_mul_f16_e32 v86, 0x3b76, v58
	v_fma_f16 v87, v19, s23, v86
	v_add_f16_e32 v12, v87, v12
	v_mul_f16_e32 v87, 0x3722, v60
	v_fma_f16 v88, v22, s22, v87
	v_add_f16_e32 v12, v88, v12
	v_mul_f16_e32 v88, 0xbacd, v62
	v_fma_f16 v89, v26, s31, v88
	v_add_f16_e32 v12, v89, v12
	v_mul_f16_sdwa v89, v15, s26 dst_sel:DWORD dst_unused:UNUSED_PAD src0_sel:WORD_1 src1_sel:DWORD
	v_fma_f16 v90, v18, s14, v89
	v_mul_f16_sdwa v91, v20, s20 dst_sel:DWORD dst_unused:UNUSED_PAD src0_sel:WORD_1 src1_sel:DWORD
	v_add_f16_e32 v90, v90, v28
	v_fma_f16 v92, v50, s21, v91
	v_add_f16_e32 v90, v92, v90
	v_mul_f16_sdwa v92, v17, s29 dst_sel:DWORD dst_unused:UNUSED_PAD src0_sel:WORD_1 src1_sel:DWORD
	v_fma_f16 v93, v24, s15, v92
	v_add_f16_e32 v90, v93, v90
	v_mul_f16_sdwa v93, v19, s25 dst_sel:DWORD dst_unused:UNUSED_PAD src0_sel:WORD_1 src1_sel:DWORD
	;; [unrolled: 3-line block ×5, first 2 shown]
	v_fma_f16 v97, v32, s17, v96
	s_movk_i32 s33, 0x3964
	v_add_f16_e32 v90, v97, v90
	v_mul_f16_sdwa v97, v31, s33 dst_sel:DWORD dst_unused:UNUSED_PAD src0_sel:WORD_1 src1_sel:DWORD
	v_fma_f16 v98, v33, s9, v97
	v_add_f16_e32 v90, v98, v90
	v_mul_f16_e32 v98, 0xb461, v52
	v_fma_f16 v99, v15, s29, v98
	v_mul_f16_e32 v100, 0xbacd, v16
	v_add_f16_sdwa v99, v99, v28 dst_sel:DWORD dst_unused:UNUSED_PAD src0_sel:DWORD src1_sel:WORD_1
	v_fma_f16 v101, v20, s18, v100
	v_add_f16_e32 v99, v101, v99
	v_mul_f16_e32 v101, 0x39e9, v55
	v_fma_f16 v102, v17, s28, v101
	v_add_f16_e32 v99, v102, v99
	v_mul_f16_e32 v102, 0x3722, v58
	;; [unrolled: 3-line block ×6, first 2 shown]
	v_fma_f16 v107, v31, s30, v106
	v_add_f16_e32 v99, v107, v99
	v_mul_f16_sdwa v107, v15, s11 dst_sel:DWORD dst_unused:UNUSED_PAD src0_sel:WORD_1 src1_sel:DWORD
	v_fma_f16 v108, v18, s15, v107
	v_mul_f16_sdwa v109, v20, s31 dst_sel:DWORD dst_unused:UNUSED_PAD src0_sel:WORD_1 src1_sel:DWORD
	v_add_f16_e32 v108, v108, v28
	v_fma_f16 v110, v50, s19, v109
	v_add_f16_e32 v108, v110, v108
	v_mul_f16_sdwa v110, v17, s33 dst_sel:DWORD dst_unused:UNUSED_PAD src0_sel:WORD_1 src1_sel:DWORD
	v_fma_f16 v111, v24, s9, v110
	v_add_f16_e32 v108, v111, v108
	v_mul_f16_sdwa v111, v19, s27 dst_sel:DWORD dst_unused:UNUSED_PAD src0_sel:WORD_1 src1_sel:DWORD
	;; [unrolled: 3-line block ×6, first 2 shown]
	v_fma_f16 v116, v33, s17, v115
	v_add_f16_e32 v108, v116, v108
	v_mul_f16_e32 v116, 0xb8d2, v52
	v_fma_f16 v117, v15, s30, v116
	v_mul_f16_e32 v118, 0xb461, v16
	v_add_f16_sdwa v117, v117, v28 dst_sel:DWORD dst_unused:UNUSED_PAD src0_sel:DWORD src1_sel:WORD_1
	v_fma_f16 v119, v20, s11, v118
	v_add_f16_e32 v117, v119, v117
	v_mul_f16_e32 v119, 0x3b76, v55
	v_fma_f16 v120, v17, s25, v119
	v_add_f16_e32 v117, v120, v117
	v_mul_f16_e32 v120, 0xbacd, v58
	;; [unrolled: 3-line block ×6, first 2 shown]
	v_fma_f16 v125, v31, s27, v124
	v_add_f16_e32 v117, v125, v117
	v_mul_f16_sdwa v125, v15, s16 dst_sel:DWORD dst_unused:UNUSED_PAD src0_sel:WORD_1 src1_sel:DWORD
	v_fma_f16 v126, v18, s17, v125
	v_mul_f16_sdwa v127, v20, s29 dst_sel:DWORD dst_unused:UNUSED_PAD src0_sel:WORD_1 src1_sel:DWORD
	v_add_f16_e32 v126, v126, v28
	v_fma_f16 v128, v50, s15, v127
	v_add_f16_e32 v126, v128, v126
	v_mul_f16_sdwa v128, v17, s23 dst_sel:DWORD dst_unused:UNUSED_PAD src0_sel:WORD_1 src1_sel:DWORD
	v_fma_f16 v129, v24, s8, v128
	v_add_f16_e32 v126, v129, v126
	v_mul_f16_sdwa v129, v19, s18 dst_sel:DWORD dst_unused:UNUSED_PAD src0_sel:WORD_1 src1_sel:DWORD
	;; [unrolled: 3-line block ×6, first 2 shown]
	v_fma_f16 v134, v33, s10, v133
	v_add_f16_e32 v126, v134, v126
	v_mul_f16_e32 v134, 0xbacd, v52
	v_fma_f16 v135, v15, s31, v134
	v_mul_f16_e32 v136, 0x3722, v16
	v_add_f16_sdwa v135, v135, v28 dst_sel:DWORD dst_unused:UNUSED_PAD src0_sel:DWORD src1_sel:WORD_1
	v_fma_f16 v137, v20, s27, v136
	v_add_f16_e32 v135, v137, v135
	v_mul_f16_e32 v137, 0x2de8, v55
	v_fma_f16 v138, v17, s24, v137
	v_add_f16_e32 v135, v138, v135
	v_mul_f16_e32 v138, 0xb8d2, v58
	v_fma_f16 v139, v19, s16, v138
	v_fma_f16 v14, v15, s26, v14
	v_add_f16_e32 v135, v139, v135
	v_mul_f16_e32 v139, 0x3b76, v60
	v_add_f16_sdwa v14, v14, v28 dst_sel:DWORD dst_unused:UNUSED_PAD src0_sel:DWORD src1_sel:WORD_1
	v_fma_f16 v84, v20, s20, v84
	v_fma_f16 v140, v22, s25, v139
	;; [unrolled: 1-line block ×5, first 2 shown]
	v_add_f16_e32 v14, v84, v14
	v_fma_f16 v84, v17, s29, v85
	v_add_f16_e32 v135, v140, v135
	v_mul_f16_e32 v140, 0xbbdd, v62
	v_add_f16_sdwa v134, v134, v28 dst_sel:DWORD dst_unused:UNUSED_PAD src0_sel:DWORD src1_sel:WORD_1
	v_fma_f16 v136, v20, s22, v136
	v_add_f16_sdwa v116, v116, v28 dst_sel:DWORD dst_unused:UNUSED_PAD src0_sel:DWORD src1_sel:WORD_1
	v_fma_f16 v118, v20, s29, v118
	;; [unrolled: 2-line block ×3, first 2 shown]
	v_add_f16_e32 v14, v84, v14
	v_fma_f16 v84, v19, s25, v86
	v_fma_f16 v141, v26, s34, v140
	v_add_f16_e32 v134, v136, v134
	v_fma_f16 v136, v17, s26, v137
	v_add_f16_e32 v116, v118, v116
	;; [unrolled: 2-line block ×5, first 2 shown]
	v_mul_f16_e32 v141, 0x39e9, v66
	v_add_f16_e32 v134, v136, v134
	v_fma_f16 v136, v19, s30, v138
	v_add_f16_e32 v116, v118, v116
	v_fma_f16 v118, v19, s18, v120
	;; [unrolled: 2-line block ×4, first 2 shown]
	v_fma_f16 v142, v29, s28, v141
	v_add_f16_e32 v134, v136, v134
	v_fma_f16 v136, v22, s23, v139
	v_add_f16_e32 v116, v118, v116
	;; [unrolled: 2-line block ×4, first 2 shown]
	v_mul_f16_e32 v84, 0xb8d2, v66
	v_mul_f16_e32 v52, 0x3b76, v52
	v_add_f16_e32 v135, v142, v135
	v_mul_f16_e32 v142, 0xb461, v67
	v_add_f16_e32 v134, v136, v134
	v_fma_f16 v136, v26, s20, v140
	v_add_f16_e32 v116, v118, v116
	v_fma_f16 v118, v26, s28, v122
	;; [unrolled: 2-line block ×3, first 2 shown]
	v_fma_f16 v85, v29, s30, v84
	v_add_f16_e32 v51, v51, v52
	v_mul_f16_e32 v52, 0x39e9, v16
	v_fma_f16 v143, v31, s29, v142
	v_add_f16_e32 v134, v136, v134
	v_fma_f16 v136, v29, s33, v141
	v_add_f16_e32 v116, v118, v116
	;; [unrolled: 2-line block ×4, first 2 shown]
	v_mul_f16_e32 v85, 0x39e9, v67
	v_add_f16_e32 v52, v53, v52
	v_add_f16_sdwa v51, v51, v28 dst_sel:DWORD dst_unused:UNUSED_PAD src0_sel:DWORD src1_sel:WORD_1
	v_pk_add_f16 v10, v10, v13
	v_add_f16_e32 v135, v143, v135
	v_mul_f16_sdwa v143, v15, s18 dst_sel:DWORD dst_unused:UNUSED_PAD src0_sel:WORD_1 src1_sel:DWORD
	v_mul_f16_sdwa v145, v20, s22 dst_sel:DWORD dst_unused:UNUSED_PAD src0_sel:WORD_1 src1_sel:DWORD
	v_add_f16_e32 v134, v136, v134
	v_fma_f16 v136, v31, s11, v142
	v_add_f16_e32 v116, v118, v116
	v_fma_f16 v118, v31, s22, v124
	;; [unrolled: 2-line block ×3, first 2 shown]
	v_fma_f16 v86, v31, s33, v85
	v_add_f16_e32 v51, v52, v51
	v_mul_f16_e32 v52, 0x3722, v55
	v_mul_f16_e32 v53, 0x3b76, v18
	v_pk_add_f16 v10, v11, v10
	v_fma_f16 v144, v18, s19, v143
	v_fma_f16 v146, v50, s10, v145
	v_add_f16_e32 v134, v136, v134
	v_fma_f16 v136, v18, s19, -v143
	v_fma_f16 v137, v50, s10, -v145
	v_add_f16_e32 v116, v118, v116
	v_fma_f16 v118, v18, s17, -v125
	v_fma_f16 v119, v50, s15, -v127
	;; [unrolled: 3-line block ×4, first 2 shown]
	v_fma_f16 v76, v15, s27, v76
	v_fma_f16 v68, v18, s9, -v68
	v_fma_f16 v69, v50, s14, -v69
	v_add_f16_e32 v52, v54, v52
	v_mul_f16_e32 v50, 0x39e9, v50
	v_sub_f16_e32 v34, v53, v34
	v_pk_add_f16 v8, v8, v10
	v_add_f16_e32 v144, v144, v28
	v_add_f16_e32 v136, v136, v28
	;; [unrolled: 1-line block ×5, first 2 shown]
	v_add_f16_sdwa v76, v76, v28 dst_sel:DWORD dst_unused:UNUSED_PAD src0_sel:DWORD src1_sel:WORD_1
	v_add_f16_e32 v68, v68, v28
	v_add_f16_e32 v51, v52, v51
	v_mul_f16_e32 v52, 0x3722, v24
	v_mul_f16_e32 v54, 0x2de8, v58
	v_add_f16_e32 v28, v34, v28
	v_sub_f16_e32 v35, v50, v35
	v_pk_add_f16 v8, v9, v8
	v_add_f16_e32 v54, v57, v54
	v_mul_f16_e32 v55, 0x2de8, v25
	v_add_f16_e32 v28, v35, v28
	v_sub_f16_e32 v36, v52, v36
	v_pk_add_f16 v6, v6, v8
	v_add_f16_e32 v144, v146, v144
	v_mul_f16_sdwa v146, v17, s26 dst_sel:DWORD dst_unused:UNUSED_PAD src0_sel:WORD_1 src1_sel:DWORD
	v_fma_f16 v77, v20, s16, v77
	v_add_f16_e32 v51, v54, v51
	v_mul_f16_e32 v54, 0xb461, v27
	v_mul_f16_e32 v57, 0xb461, v60
	v_add_f16_e32 v28, v36, v28
	v_sub_f16_e32 v37, v55, v37
	v_pk_add_f16 v6, v7, v6
	v_fma_f16 v147, v24, s14, v146
	v_add_f16_e32 v76, v77, v76
	v_fma_f16 v77, v17, s34, v78
	v_add_f16_e32 v57, v59, v57
	v_mul_f16_e32 v58, 0xb8d2, v30
	v_mul_f16_e32 v59, 0xb8d2, v62
	v_add_f16_e32 v28, v37, v28
	v_sub_f16_e32 v45, v54, v45
	v_pk_add_f16 v4, v4, v6
	v_add_f16_e32 v144, v147, v144
	v_mul_f16_sdwa v147, v19, s30 dst_sel:DWORD dst_unused:UNUSED_PAD src0_sel:WORD_1 src1_sel:DWORD
	v_add_f16_e32 v76, v77, v76
	v_fma_f16 v77, v19, s29, v79
	v_add_f16_e32 v51, v57, v51
	v_mul_f16_e32 v57, 0xbacd, v32
	v_mul_f16_e32 v60, 0xbacd, v66
	v_add_f16_e32 v59, v61, v59
	v_add_f16_e32 v28, v45, v28
	v_sub_f16_e32 v46, v58, v46
	v_pk_add_f16 v4, v5, v4
	v_fma_f16 v148, v25, s17, v147
	v_add_f16_e32 v76, v77, v76
	v_fma_f16 v77, v22, s33, v80
	v_mul_f16_e32 v61, 0xbbdd, v33
	v_mul_f16_e32 v62, 0xbbdd, v67
	v_add_f16_e32 v51, v59, v51
	v_add_f16_e32 v60, v63, v60
	;; [unrolled: 1-line block ×3, first 2 shown]
	v_sub_f16_e32 v49, v57, v49
	v_pk_add_f16 v2, v2, v4
	v_add_f16_e32 v144, v148, v144
	v_mul_f16_sdwa v148, v22, s23 dst_sel:DWORD dst_unused:UNUSED_PAD src0_sel:WORD_1 src1_sel:DWORD
	v_add_f16_e32 v76, v77, v76
	v_fma_f16 v77, v26, s23, v81
	s_mov_b32 s23, 0x39e93722
	v_add_f16_e32 v51, v60, v51
	v_add_f16_e32 v62, v65, v62
	;; [unrolled: 1-line block ×3, first 2 shown]
	v_sub_f16_e32 v48, v61, v48
	v_pk_add_f16 v2, v3, v2
	v_pk_mul_f16 v59, v18, s23
	s_mov_b32 s23, 0xbb29b964
	s_mov_b32 s27, 0xba62bbf7
	v_add_f16_e32 v51, v62, v51
	v_add_f16_e32 v28, v48, v28
	v_mul_lo_u16_e32 v13, 17, v38
	v_pk_add_f16 v0, v0, v2
	v_add_f16_e32 v76, v77, v76
	v_fma_f16 v77, v29, s26, v82
	v_pk_fma_f16 v63, v15, s23, v59 op_sel:[0,0,1] op_sel_hi:[1,1,0] neg_lo:[1,0,0] neg_hi:[1,0,0]
	s_mov_b32 s26, 0xb8d22de8
	v_pk_mul_f16 v60, v20, s27
	s_mov_b32 s27, 0xb8d2bbdd
	v_pk_fma_f16 v59, v15, s23, v59 op_sel:[0,0,1] op_sel_hi:[1,1,0]
	v_add_lshl_u32 v13, v41, v13, 2
	v_pk_add_f16 v0, v1, v0
	v_pack_b32_f16 v1, v28, v51
	s_mov_b32 s23, 0xffff
	v_pk_fma_f16 v65, v16, s26, v60 neg_lo:[0,0,1] neg_hi:[0,0,1]
	v_pk_mul_f16 v62, v24, s27
	s_mov_b32 s27, 0x31e1ba62
	s_mov_b32 s28, 0xbbddb461
	v_pk_fma_f16 v60, v16, s26, v60
	ds_write2_b32 v13, v0, v1 offset1:1
	v_bfi_b32 v0, s23, v59, v63
	v_pk_fma_f16 v53, v17, s27, v62 op_sel:[0,0,1] op_sel_hi:[1,1,0] neg_lo:[1,0,0] neg_hi:[1,0,0]
	v_pk_mul_f16 v34, v25, s28
	s_mov_b32 s28, 0x3bb2b1e1
	s_mov_b32 s29, 0xbacd39e9
	v_pk_fma_f16 v62, v17, s27, v62 op_sel:[0,0,1] op_sel_hi:[1,1,0]
	v_pk_add_f16 v0, v0, v64
	v_bfi_b32 v1, s23, v60, v65
	v_pk_fma_f16 v50, v19, s28, v34 op_sel:[0,0,1] op_sel_hi:[1,1,0] neg_lo:[1,0,0] neg_hi:[1,0,0]
	v_pk_mul_f16 v35, v27, s29
	s_mov_b32 s29, 0x39643836
	s_mov_b32 s30, 0xb4613b76
	v_pk_fma_f16 v34, v19, s28, v34 op_sel:[0,0,1] op_sel_hi:[1,1,0]
	v_pk_add_f16 v0, v1, v0
	v_bfi_b32 v1, s23, v62, v53
	v_add_f16_e32 v68, v69, v68
	v_fma_f16 v69, v24, s17, -v70
	v_pk_fma_f16 v52, v22, s29, v35 op_sel:[0,0,1] op_sel_hi:[1,1,0] neg_lo:[1,0,0] neg_hi:[1,0,0]
	v_pk_mul_f16 v36, v30, s30
	s_mov_b32 s30, 0xb5c83bb2
	s_mov_b32 s31, 0x37222de8
	v_pk_fma_f16 v35, v22, s29, v35 op_sel:[0,0,1] op_sel_hi:[1,1,0]
	v_pk_add_f16 v0, v1, v0
	v_bfi_b32 v1, s23, v34, v50
	v_fma_f16 v149, v27, s8, v148
	v_add_f16_e32 v100, v101, v100
	v_fma_f16 v101, v24, s9, -v110
	v_add_f16_e32 v86, v87, v86
	v_fma_f16 v87, v24, s15, -v92
	v_add_f16_e32 v68, v69, v68
	v_fma_f16 v69, v25, s21, -v71
	v_pk_fma_f16 v55, v26, s30, v36 op_sel:[0,0,1] op_sel_hi:[1,1,0] neg_lo:[1,0,0] neg_hi:[1,0,0]
	v_pk_mul_f16 v37, v32, s31
	s_mov_b32 s31, 0xbbf73b29
	v_pk_fma_f16 v36, v26, s30, v36 op_sel:[0,0,1] op_sel_hi:[1,1,0]
	v_pk_add_f16 v0, v1, v0
	v_bfi_b32 v1, s23, v35, v52
	v_add_f16_e32 v144, v149, v144
	v_mul_f16_sdwa v149, v26, s20 dst_sel:DWORD dst_unused:UNUSED_PAD src0_sel:WORD_1 src1_sel:DWORD
	v_add_f16_e32 v136, v137, v136
	v_fma_f16 v137, v24, s14, -v146
	v_add_f16_e32 v118, v119, v118
	v_fma_f16 v119, v24, s8, -v128
	;; [unrolled: 2-line block ×5, first 2 shown]
	v_pk_fma_f16 v54, v29, s31, v37 op_sel:[0,0,1] op_sel_hi:[1,1,0] neg_lo:[1,0,0] neg_hi:[1,0,0]
	s_mov_b32 s34, 0x3b76bacd
	v_pk_fma_f16 v37, v29, s31, v37 op_sel:[0,0,1] op_sel_hi:[1,1,0]
	v_pk_add_f16 v0, v1, v0
	v_bfi_b32 v1, s23, v36, v55
	v_fma_f16 v150, v30, s21, v149
	v_add_f16_e32 v136, v137, v136
	v_fma_f16 v137, v25, s17, -v147
	v_add_f16_e32 v118, v119, v118
	v_fma_f16 v119, v25, s19, -v129
	;; [unrolled: 2-line block ×5, first 2 shown]
	v_pk_mul_f16 v45, v33, s34
	s_mov_b32 s34, 0xb83635c8
	v_pk_add_f16 v0, v1, v0
	v_bfi_b32 v1, s23, v37, v54
	v_add_f16_e32 v144, v150, v144
	v_mul_f16_sdwa v150, v29, s33 dst_sel:DWORD dst_unused:UNUSED_PAD src0_sel:WORD_1 src1_sel:DWORD
	v_add_f16_e32 v136, v137, v136
	v_fma_f16 v137, v27, s8, -v148
	v_add_f16_e32 v118, v119, v118
	v_fma_f16 v119, v27, s14, -v130
	;; [unrolled: 2-line block ×5, first 2 shown]
	v_pk_fma_f16 v46, v31, s34, v45 op_sel:[0,0,1] op_sel_hi:[1,1,0] neg_lo:[1,0,0] neg_hi:[1,0,0]
	v_pk_add_f16 v0, v1, v0
	v_pk_fma_f16 v1, v31, s34, v45 op_sel:[0,0,1] op_sel_hi:[1,1,0]
	v_fma_f16 v151, v32, s9, v150
	v_add_f16_e32 v136, v137, v136
	v_fma_f16 v137, v30, s21, -v149
	v_add_f16_e32 v118, v119, v118
	v_fma_f16 v119, v30, s9, -v131
	;; [unrolled: 2-line block ×4, first 2 shown]
	v_add_f16_e32 v76, v77, v76
	v_fma_f16 v77, v31, s18, v83
	v_add_f16_e32 v68, v69, v68
	v_fma_f16 v69, v33, s8, -v75
	v_bfi_b32 v1, s23, v1, v46
	v_add_f16_e32 v144, v151, v144
	v_mul_f16_sdwa v151, v31, s11 dst_sel:DWORD dst_unused:UNUSED_PAD src0_sel:WORD_1 src1_sel:DWORD
	v_add_f16_e32 v136, v137, v136
	v_fma_f16 v137, v32, s9, -v150
	v_add_f16_e32 v118, v119, v118
	v_fma_f16 v119, v32, s21, -v132
	;; [unrolled: 2-line block ×4, first 2 shown]
	v_add_f16_e32 v76, v77, v76
	v_add_f16_e32 v68, v69, v68
	v_pk_add_f16 v0, v1, v0
	v_add_f16_e32 v136, v137, v136
	v_fma_f16 v137, v33, s15, -v151
	v_add_f16_e32 v118, v119, v118
	v_fma_f16 v119, v33, s10, -v133
	v_add_f16_e32 v100, v101, v100
	v_add_f16_e32 v86, v87, v86
	v_alignbit_b32 v1, v76, v0, 16
	v_pack_b32_f16 v0, v68, v0
	v_add_f16_e32 v136, v137, v136
	v_add_f16_e32 v118, v119, v118
	ds_write2_b32 v13, v0, v1 offset0:2 offset1:3
	v_pack_b32_f16 v0, v100, v98
	v_pack_b32_f16 v1, v86, v14
	ds_write2_b32 v13, v1, v0 offset0:4 offset1:5
	v_pack_b32_f16 v0, v136, v134
	v_pack_b32_f16 v1, v118, v116
	ds_write2_b32 v13, v1, v0 offset0:6 offset1:7
	v_pk_mul_f16 v0, v18, s21 op_sel_hi:[1,0]
	v_pk_fma_f16 v1, v15, s20, v0 op_sel:[0,0,1] op_sel_hi:[1,0,0] neg_lo:[1,0,0] neg_hi:[1,0,0]
	v_pk_mul_f16 v2, v20, s25 op_sel_hi:[1,0]
	v_pk_add_f16 v1, v1, v64
	v_pk_fma_f16 v3, v16, s8, v2 op_sel_hi:[1,0,1] neg_lo:[0,0,1] neg_hi:[0,0,1]
	v_pk_add_f16 v1, v3, v1
	v_pk_mul_f16 v3, v24, s19 op_sel_hi:[1,0]
	v_pk_fma_f16 v4, v17, s18, v3 op_sel:[0,0,1] op_sel_hi:[1,0,0] neg_lo:[1,0,0] neg_hi:[1,0,0]
	v_pk_add_f16 v1, v4, v1
	v_pk_mul_f16 v4, v25, s9 op_sel_hi:[1,0]
	v_pk_fma_f16 v5, v19, s33, v4 op_sel:[0,0,1] op_sel_hi:[1,0,0] neg_lo:[1,0,0] neg_hi:[1,0,0]
	v_pk_add_f16 v1, v5, v1
	v_pk_mul_f16 v5, v27, s17 op_sel_hi:[1,0]
	v_pk_fma_f16 v0, v15, s20, v0 op_sel:[0,0,1] op_sel_hi:[1,0,0]
	v_pk_fma_f16 v6, v22, s16, v5 op_sel:[0,0,1] op_sel_hi:[1,0,0] neg_lo:[1,0,0] neg_hi:[1,0,0]
	v_pk_add_f16 v0, v0, v64
	v_pk_fma_f16 v2, v16, s8, v2 op_sel_hi:[1,0,1]
	v_pk_add_f16 v1, v6, v1
	v_pk_mul_f16 v6, v30, s10 op_sel_hi:[1,0]
	v_pk_add_f16 v0, v2, v0
	v_pk_fma_f16 v2, v17, s18, v3 op_sel:[0,0,1] op_sel_hi:[1,0,0]
	v_pk_fma_f16 v7, v26, s22, v6 op_sel:[0,0,1] op_sel_hi:[1,0,0] neg_lo:[1,0,0] neg_hi:[1,0,0]
	v_pk_add_f16 v0, v2, v0
	v_pk_fma_f16 v2, v19, s33, v4 op_sel:[0,0,1] op_sel_hi:[1,0,0]
	v_pk_add_f16 v1, v7, v1
	v_pk_mul_f16 v7, v32, s15 op_sel_hi:[1,0]
	v_pk_add_f16 v0, v2, v0
	v_pk_fma_f16 v2, v22, s16, v5 op_sel:[0,0,1] op_sel_hi:[1,0,0]
	v_pk_fma_f16 v8, v29, s11, v7 op_sel:[0,0,1] op_sel_hi:[1,0,0] neg_lo:[1,0,0] neg_hi:[1,0,0]
	v_pk_add_f16 v0, v2, v0
	v_pk_fma_f16 v2, v26, s22, v6 op_sel:[0,0,1] op_sel_hi:[1,0,0]
	v_pk_add_f16 v1, v8, v1
	v_pk_mul_f16 v8, v33, s14 op_sel_hi:[1,0]
	v_pk_add_f16 v0, v2, v0
	v_pk_fma_f16 v2, v29, s11, v7 op_sel:[0,0,1] op_sel_hi:[1,0,0]
	v_pk_add_f16 v49, v59, v64
	v_pk_fma_f16 v9, v31, s24, v8 op_sel:[0,0,1] op_sel_hi:[1,0,0] neg_lo:[1,0,0] neg_hi:[1,0,0]
	v_pk_add_f16 v0, v2, v0
	v_pk_fma_f16 v2, v31, s24, v8 op_sel:[0,0,1] op_sel_hi:[1,0,0]
	v_fma_f16 v152, v33, s15, v151
	v_pk_add_f16 v49, v60, v49
	v_pk_add_f16 v1, v9, v1
	;; [unrolled: 1-line block ×3, first 2 shown]
	v_add_f16_e32 v144, v152, v144
	v_pk_add_f16 v49, v62, v49
	v_alignbit_b32 v2, v1, v0, 16
	v_alignbit_b32 v0, v0, v1, 16
	v_add_f16_e32 v57, v63, v64
	v_pk_add_f16 v49, v34, v49
	ds_write2_b32 v13, v0, v2 offset0:8 offset1:9
	v_pack_b32_f16 v0, v126, v117
	v_pack_b32_f16 v1, v144, v135
	v_pk_mul_f16 v58, v31, s34
	v_add_f16_e32 v57, v65, v57
	v_pk_add_f16 v49, v35, v49
	v_fma_f16 v66, v29, s16, v84
	ds_write2_b32 v13, v1, v0 offset0:10 offset1:11
	v_pack_b32_f16 v0, v108, v99
	v_add_f16_e32 v57, v53, v57
	v_pk_add_f16 v49, v36, v49
	v_mul_f16_e32 v61, 0x3964, v31
	ds_write_b32 v13, v0 offset:48
	v_pack_b32_f16 v0, v66, v45
	v_bfi_b32 v1, s23, v12, v58
	v_add_f16_e32 v57, v50, v57
	v_pk_add_f16 v0, v0, v1
	v_bfi_b32 v1, s23, v61, v49
	v_add_f16_e32 v57, v52, v57
	v_pk_add_f16 v1, v85, v1 neg_lo:[0,1] neg_hi:[0,1]
	v_pk_add_f16 v2, v37, v49
	v_add_f16_e32 v57, v55, v57
	v_bfi_b32 v1, s23, v1, v2
	v_add_f16_e32 v57, v54, v57
	v_pk_add_f16 v0, v1, v0
	v_add_f16_e32 v57, v46, v57
	v_alignbit_b32 v1, v56, v0, 16
	v_pack_b32_f16 v0, v90, v0
	s_mov_b32 s8, 0x5040100
	ds_write2_b32 v13, v0, v1 offset0:13 offset1:14
	v_pack_b32_f16 v0, v47, v57
	v_perm_b32 v1, v44, v23, s8
	ds_write2_b32 v13, v0, v1 offset0:15 offset1:16
.LBB0_7:
	s_or_b64 exec, exec, s[4:5]
	s_movk_i32 s4, 0xf1
	v_add_u16_e32 v2, 0x44, v38
	v_mul_lo_u16_sdwa v3, v2, s4 dst_sel:DWORD dst_unused:UNUSED_PAD src0_sel:BYTE_0 src1_sel:DWORD
	v_lshrrev_b16_e32 v35, 12, v3
	v_mul_lo_u16_e32 v3, 17, v35
	v_add_u16_e32 v37, 0x88, v38
	v_mul_lo_u16_sdwa v0, v38, s4 dst_sel:DWORD dst_unused:UNUSED_PAD src0_sel:BYTE_0 src1_sel:DWORD
	v_sub_u16_e32 v2, v2, v3
	v_mul_lo_u16_sdwa v3, v37, s4 dst_sel:DWORD dst_unused:UNUSED_PAD src0_sel:BYTE_0 src1_sel:DWORD
	v_lshrrev_b16_e32 v20, 12, v0
	v_lshrrev_b16_e32 v46, 12, v3
	v_mul_lo_u16_e32 v0, 17, v20
	v_mul_lo_u16_e32 v3, 17, v46
	v_sub_u16_e32 v0, v38, v0
	v_sub_u16_e32 v3, v37, v3
	v_and_b32_e32 v34, 0xff, v0
	v_and_b32_e32 v49, 0xff, v3
	s_load_dwordx4 s[8:11], s[0:1], 0x0
	v_mad_u64_u32 v[0:1], s[0:1], v34, 12, s[2:3]
	v_mad_u64_u32 v[3:4], s[0:1], v49, 12, s[2:3]
	v_and_b32_e32 v36, 0xff, v2
	s_waitcnt lgkmcnt(0)
	s_barrier
	global_load_dwordx3 v[6:8], v[0:1], off
	v_add_u32_e32 v51, 0xcc, v38
	global_load_dwordx3 v[3:5], v[3:4], off
	v_mad_u64_u32 v[0:1], s[0:1], v36, 12, s[2:3]
	s_mov_b32 s0, 0xf0f1
	v_mul_u32_u24_sdwa v53, v51, s0 dst_sel:DWORD dst_unused:UNUSED_PAD src0_sel:WORD_0 src1_sel:DWORD
	global_load_dwordx3 v[0:2], v[0:1], off
	v_lshrrev_b32_e32 v50, 20, v53
	v_mul_lo_u16_e32 v9, 17, v50
	v_sub_u16_e32 v54, v51, v9
	v_mul_lo_u16_e32 v9, 12, v54
	v_mov_b32_e32 v52, s3
	v_add_co_u32_e64 v9, s[0:1], s2, v9
	v_addc_co_u32_e64 v10, s[0:1], 0, v52, s[0:1]
	global_load_dwordx3 v[9:11], v[9:10], off
	v_add_lshl_u32 v45, v41, v38, 2
	ds_read2_b32 v[12:13], v45 offset1:68
	v_add_u32_e32 v22, 0x400, v45
	v_add_u32_e32 v25, 0x800, v45
	;; [unrolled: 1-line block ×3, first 2 shown]
	ds_read2_b32 v[14:15], v45 offset0:136 offset1:204
	ds_read2_b32 v[16:17], v22 offset0:16 offset1:84
	;; [unrolled: 1-line block ×7, first 2 shown]
	s_waitcnt lgkmcnt(5)
	v_lshrrev_b32_e32 v57, 16, v16
	s_waitcnt lgkmcnt(3)
	v_lshrrev_b32_e32 v62, 16, v27
	;; [unrolled: 2-line block ×5, first 2 shown]
	v_lshrrev_b32_e32 v66, 16, v29
	v_lshrrev_b32_e32 v58, 16, v18
	;; [unrolled: 1-line block ×11, first 2 shown]
	v_mul_u32_u24_e32 v20, 0x44, v20
	v_add_u32_e32 v20, v20, v34
	s_waitcnt vmcnt(0)
	s_barrier
	s_movk_i32 s0, 0x44
	v_mul_f16_sdwa v69, v57, v6 dst_sel:DWORD dst_unused:UNUSED_PAD src0_sel:DWORD src1_sel:WORD_1
	v_mul_f16_sdwa v70, v16, v6 dst_sel:DWORD dst_unused:UNUSED_PAD src0_sel:DWORD src1_sel:WORD_1
	v_fma_f16 v16, v16, v6, -v69
	v_mul_f16_sdwa v72, v18, v7 dst_sel:DWORD dst_unused:UNUSED_PAD src0_sel:DWORD src1_sel:WORD_1
	v_mul_f16_sdwa v74, v26, v8 dst_sel:DWORD dst_unused:UNUSED_PAD src0_sel:DWORD src1_sel:WORD_1
	;; [unrolled: 1-line block ×5, first 2 shown]
	v_fma_f16 v69, v27, v2, -v69
	v_mul_f16_sdwa v27, v27, v2 dst_sel:DWORD dst_unused:UNUSED_PAD src0_sel:DWORD src1_sel:WORD_1
	v_fma_f16 v27, v62, v2, v27
	v_mul_f16_sdwa v62, v63, v3 dst_sel:DWORD dst_unused:UNUSED_PAD src0_sel:DWORD src1_sel:WORD_1
	v_fma_f16 v62, v28, v3, -v62
	v_mul_f16_sdwa v28, v28, v3 dst_sel:DWORD dst_unused:UNUSED_PAD src0_sel:DWORD src1_sel:WORD_1
	v_fma_f16 v28, v63, v3, v28
	v_mul_f16_sdwa v63, v64, v4 dst_sel:DWORD dst_unused:UNUSED_PAD src0_sel:DWORD src1_sel:WORD_1
	;; [unrolled: 4-line block ×4, first 2 shown]
	v_fma_f16 v65, v29, v9, -v65
	v_mul_f16_sdwa v29, v29, v9 dst_sel:DWORD dst_unused:UNUSED_PAD src0_sel:DWORD src1_sel:WORD_1
	v_fma_f16 v57, v57, v6, v70
	v_fma_f16 v58, v58, v7, v72
	;; [unrolled: 1-line block ×4, first 2 shown]
	v_mul_f16_sdwa v66, v67, v10 dst_sel:DWORD dst_unused:UNUSED_PAD src0_sel:DWORD src1_sel:WORD_1
	v_fma_f16 v66, v31, v10, -v66
	v_mul_f16_sdwa v31, v31, v10 dst_sel:DWORD dst_unused:UNUSED_PAD src0_sel:DWORD src1_sel:WORD_1
	v_sub_f16_e32 v58, v47, v58
	v_sub_f16_e32 v59, v57, v59
	v_mul_f16_sdwa v75, v60, v0 dst_sel:DWORD dst_unused:UNUSED_PAD src0_sel:DWORD src1_sel:WORD_1
	v_mul_f16_sdwa v78, v19, v1 dst_sel:DWORD dst_unused:UNUSED_PAD src0_sel:DWORD src1_sel:WORD_1
	v_fma_f16 v31, v67, v10, v31
	v_mul_f16_sdwa v67, v68, v11 dst_sel:DWORD dst_unused:UNUSED_PAD src0_sel:DWORD src1_sel:WORD_1
	v_fma_f16 v47, v47, 2.0, -v58
	v_fma_f16 v57, v57, 2.0, -v59
	v_mul_f16_sdwa v76, v17, v0 dst_sel:DWORD dst_unused:UNUSED_PAD src0_sel:DWORD src1_sel:WORD_1
	v_mul_f16_sdwa v77, v61, v1 dst_sel:DWORD dst_unused:UNUSED_PAD src0_sel:DWORD src1_sel:WORD_1
	v_fma_f16 v17, v17, v0, -v75
	v_fma_f16 v61, v61, v1, v78
	v_fma_f16 v67, v33, v11, -v67
	v_mul_f16_sdwa v33, v33, v11 dst_sel:DWORD dst_unused:UNUSED_PAD src0_sel:DWORD src1_sel:WORD_1
	v_sub_f16_e32 v57, v47, v57
	v_fma_f16 v60, v60, v0, v76
	v_fma_f16 v33, v68, v11, v33
	v_fma_f16 v68, v47, 2.0, -v57
	v_sub_f16_e32 v47, v48, v61
	v_sub_f16_e32 v61, v17, v69
	v_fma_f16 v18, v18, v7, -v71
	v_fma_f16 v26, v26, v8, -v73
	v_sub_f16_e32 v27, v60, v27
	v_fma_f16 v17, v17, 2.0, -v61
	v_add_f16_e32 v61, v47, v61
	v_sub_f16_e32 v18, v12, v18
	v_sub_f16_e32 v26, v16, v26
	v_fma_f16 v48, v48, 2.0, -v47
	v_fma_f16 v60, v60, 2.0, -v27
	;; [unrolled: 1-line block ×3, first 2 shown]
	v_sub_f16_e32 v47, v14, v63
	v_sub_f16_e32 v32, v28, v32
	v_fma_f16 v12, v12, 2.0, -v18
	v_fma_f16 v16, v16, 2.0, -v26
	v_sub_f16_e32 v60, v48, v60
	v_sub_f16_e32 v30, v55, v30
	v_fma_f16 v28, v28, 2.0, -v32
	v_sub_f16_e32 v32, v47, v32
	v_sub_f16_e32 v16, v12, v16
	;; [unrolled: 1-line block ×3, first 2 shown]
	v_add_f16_e32 v26, v58, v26
	v_fma_f16 v69, v48, 2.0, -v60
	v_fma_f16 v14, v14, 2.0, -v47
	;; [unrolled: 1-line block ×3, first 2 shown]
	v_sub_f16_e32 v55, v62, v64
	v_fma_f16 v64, v47, 2.0, -v32
	v_sub_f16_e32 v47, v15, v66
	v_sub_f16_e32 v33, v29, v33
	v_fma_f16 v19, v19, v1, -v77
	v_fma_f16 v12, v12, 2.0, -v16
	v_fma_f16 v18, v18, 2.0, -v59
	;; [unrolled: 1-line block ×3, first 2 shown]
	v_sub_f16_e32 v28, v48, v28
	v_sub_f16_e32 v31, v56, v31
	v_fma_f16 v29, v29, 2.0, -v33
	v_sub_f16_e32 v33, v47, v33
	v_sub_f16_e32 v19, v13, v19
	v_fma_f16 v63, v48, 2.0, -v28
	v_fma_f16 v15, v15, 2.0, -v47
	;; [unrolled: 1-line block ×3, first 2 shown]
	v_sub_f16_e32 v56, v65, v67
	v_fma_f16 v67, v47, 2.0, -v33
	v_add_lshl_u32 v47, v41, v20, 2
	v_pack_b32_f16 v12, v12, v68
	v_pack_b32_f16 v18, v18, v58
	v_fma_f16 v13, v13, 2.0, -v19
	ds_write2_b32 v47, v12, v18 offset1:17
	v_pack_b32_f16 v12, v16, v57
	v_pack_b32_f16 v16, v59, v26
	v_sub_f16_e32 v17, v13, v17
	v_sub_f16_e32 v27, v19, v27
	ds_write2_b32 v47, v12, v16 offset0:34 offset1:51
	v_mul_u32_u24_e32 v12, 0x44, v35
	v_fma_f16 v13, v13, 2.0, -v17
	v_fma_f16 v19, v19, 2.0, -v27
	v_sub_f16_e32 v29, v48, v29
	v_add_u32_e32 v12, v12, v36
	v_fma_f16 v66, v48, 2.0, -v29
	v_add_lshl_u32 v48, v41, v12, 2
	v_pack_b32_f16 v12, v13, v69
	v_pack_b32_f16 v13, v19, v70
	v_fma_f16 v62, v62, 2.0, -v55
	ds_write2_b32 v48, v12, v13 offset1:17
	v_pack_b32_f16 v12, v17, v60
	v_pack_b32_f16 v13, v27, v61
	v_sub_f16_e32 v62, v14, v62
	v_add_f16_e32 v55, v30, v55
	ds_write2_b32 v48, v12, v13 offset0:34 offset1:51
	v_mul_u32_u24_e32 v12, 0x44, v46
	v_fma_f16 v14, v14, 2.0, -v62
	v_fma_f16 v30, v30, 2.0, -v55
	v_add_u32_e32 v12, v12, v49
	v_fma_f16 v65, v65, 2.0, -v56
	v_add_lshl_u32 v49, v41, v12, 2
	v_pack_b32_f16 v12, v14, v63
	v_pack_b32_f16 v13, v64, v30
	v_sub_f16_e32 v65, v15, v65
	v_add_f16_e32 v56, v31, v56
	ds_write2_b32 v49, v12, v13 offset1:17
	v_pack_b32_f16 v12, v62, v28
	v_pack_b32_f16 v13, v32, v55
	v_fma_f16 v15, v15, 2.0, -v65
	v_fma_f16 v31, v31, 2.0, -v56
	ds_write2_b32 v49, v12, v13 offset0:34 offset1:51
	v_mad_legacy_u16 v12, v50, s0, v54
	v_add_lshl_u32 v50, v41, v12, 2
	v_pack_b32_f16 v12, v15, v66
	v_pack_b32_f16 v13, v67, v31
	ds_write2_b32 v50, v12, v13 offset1:17
	v_pack_b32_f16 v12, v65, v29
	v_pack_b32_f16 v13, v33, v56
	ds_write2_b32 v50, v12, v13 offset0:34 offset1:51
	v_mad_u64_u32 v[12:13], s[0:1], v38, 12, s[2:3]
	s_waitcnt lgkmcnt(0)
	s_barrier
	global_load_dwordx3 v[12:14], v[12:13], off offset:204
	s_movk_i32 s0, 0x79
	v_mul_lo_u16_sdwa v15, v37, s0 dst_sel:DWORD dst_unused:UNUSED_PAD src0_sel:BYTE_0 src1_sel:DWORD
	v_lshrrev_b16_e32 v15, 13, v15
	v_mul_lo_u16_e32 v15, 0x44, v15
	v_sub_u16_e32 v15, v37, v15
	v_and_b32_e32 v46, 0xff, v15
	v_mad_u64_u32 v[15:16], s[0:1], v46, 12, s[2:3]
	v_lshrrev_b32_e32 v18, 22, v53
	v_mul_lo_u16_e32 v18, 0x44, v18
	global_load_dwordx3 v[15:17], v[15:16], off offset:204
	v_sub_u16_e32 v56, v51, v18
	v_mul_lo_u16_e32 v18, 12, v56
	v_add_co_u32_e64 v18, s[0:1], s2, v18
	v_addc_co_u32_e64 v19, s[0:1], 0, v52, s[0:1]
	global_load_dwordx3 v[18:20], v[18:19], off offset:204
	ds_read2_b32 v[26:27], v45 offset1:68
	ds_read2_b32 v[28:29], v22 offset0:16 offset1:84
	ds_read2_b32 v[30:31], v25 offset0:32 offset1:100
	;; [unrolled: 1-line block ×7, first 2 shown]
	s_waitcnt lgkmcnt(7)
	v_lshrrev_b32_e32 v55, 16, v26
	s_waitcnt lgkmcnt(6)
	v_lshrrev_b32_e32 v57, 16, v28
	;; [unrolled: 2-line block ×4, first 2 shown]
	v_lshrrev_b32_e32 v61, 16, v29
	v_lshrrev_b32_e32 v62, 16, v31
	;; [unrolled: 1-line block ×3, first 2 shown]
	s_waitcnt lgkmcnt(2)
	v_lshrrev_b32_e32 v65, 16, v36
	s_waitcnt lgkmcnt(1)
	v_lshrrev_b32_e32 v66, 16, v51
	;; [unrolled: 2-line block ×3, first 2 shown]
	v_lshrrev_b32_e32 v69, 16, v37
	v_lshrrev_b32_e32 v70, 16, v52
	;; [unrolled: 1-line block ×6, first 2 shown]
	s_waitcnt vmcnt(0)
	s_barrier
	v_add_lshl_u32 v56, v41, v56, 2
	v_mul_f16_sdwa v72, v57, v12 dst_sel:DWORD dst_unused:UNUSED_PAD src0_sel:DWORD src1_sel:WORD_1
	v_fma_f16 v72, v28, v12, -v72
	v_mul_f16_sdwa v28, v28, v12 dst_sel:DWORD dst_unused:UNUSED_PAD src0_sel:DWORD src1_sel:WORD_1
	v_fma_f16 v28, v57, v12, v28
	v_mul_f16_sdwa v57, v58, v13 dst_sel:DWORD dst_unused:UNUSED_PAD src0_sel:DWORD src1_sel:WORD_1
	v_fma_f16 v57, v30, v13, -v57
	v_mul_f16_sdwa v30, v30, v13 dst_sel:DWORD dst_unused:UNUSED_PAD src0_sel:DWORD src1_sel:WORD_1
	v_fma_f16 v30, v58, v13, v30
	v_mul_f16_sdwa v58, v59, v14 dst_sel:DWORD dst_unused:UNUSED_PAD src0_sel:DWORD src1_sel:WORD_1
	v_fma_f16 v58, v32, v14, -v58
	v_mul_f16_sdwa v32, v32, v14 dst_sel:DWORD dst_unused:UNUSED_PAD src0_sel:DWORD src1_sel:WORD_1
	v_fma_f16 v32, v59, v14, v32
	v_mul_f16_sdwa v59, v61, v12 dst_sel:DWORD dst_unused:UNUSED_PAD src0_sel:DWORD src1_sel:WORD_1
	v_fma_f16 v59, v29, v12, -v59
	v_mul_f16_sdwa v29, v29, v12 dst_sel:DWORD dst_unused:UNUSED_PAD src0_sel:DWORD src1_sel:WORD_1
	v_fma_f16 v29, v61, v12, v29
	v_mul_f16_sdwa v61, v62, v13 dst_sel:DWORD dst_unused:UNUSED_PAD src0_sel:DWORD src1_sel:WORD_1
	v_fma_f16 v61, v31, v13, -v61
	v_mul_f16_sdwa v31, v31, v13 dst_sel:DWORD dst_unused:UNUSED_PAD src0_sel:DWORD src1_sel:WORD_1
	v_fma_f16 v31, v62, v13, v31
	v_mul_f16_sdwa v62, v63, v14 dst_sel:DWORD dst_unused:UNUSED_PAD src0_sel:DWORD src1_sel:WORD_1
	v_fma_f16 v62, v33, v14, -v62
	v_mul_f16_sdwa v33, v33, v14 dst_sel:DWORD dst_unused:UNUSED_PAD src0_sel:DWORD src1_sel:WORD_1
	v_fma_f16 v33, v63, v14, v33
	v_mul_f16_sdwa v63, v65, v15 dst_sel:DWORD dst_unused:UNUSED_PAD src0_sel:DWORD src1_sel:WORD_1
	v_fma_f16 v63, v36, v15, -v63
	v_mul_f16_sdwa v36, v36, v15 dst_sel:DWORD dst_unused:UNUSED_PAD src0_sel:DWORD src1_sel:WORD_1
	v_fma_f16 v36, v65, v15, v36
	v_mul_f16_sdwa v65, v66, v16 dst_sel:DWORD dst_unused:UNUSED_PAD src0_sel:DWORD src1_sel:WORD_1
	v_fma_f16 v65, v51, v16, -v65
	v_mul_f16_sdwa v51, v51, v16 dst_sel:DWORD dst_unused:UNUSED_PAD src0_sel:DWORD src1_sel:WORD_1
	v_fma_f16 v51, v66, v16, v51
	v_mul_f16_sdwa v66, v67, v17 dst_sel:DWORD dst_unused:UNUSED_PAD src0_sel:DWORD src1_sel:WORD_1
	v_fma_f16 v66, v53, v17, -v66
	v_mul_f16_sdwa v53, v53, v17 dst_sel:DWORD dst_unused:UNUSED_PAD src0_sel:DWORD src1_sel:WORD_1
	v_fma_f16 v53, v67, v17, v53
	v_mul_f16_sdwa v67, v69, v18 dst_sel:DWORD dst_unused:UNUSED_PAD src0_sel:DWORD src1_sel:WORD_1
	v_fma_f16 v67, v37, v18, -v67
	v_mul_f16_sdwa v37, v37, v18 dst_sel:DWORD dst_unused:UNUSED_PAD src0_sel:DWORD src1_sel:WORD_1
	v_fma_f16 v37, v69, v18, v37
	v_mul_f16_sdwa v69, v70, v19 dst_sel:DWORD dst_unused:UNUSED_PAD src0_sel:DWORD src1_sel:WORD_1
	v_fma_f16 v69, v52, v19, -v69
	v_mul_f16_sdwa v52, v52, v19 dst_sel:DWORD dst_unused:UNUSED_PAD src0_sel:DWORD src1_sel:WORD_1
	v_fma_f16 v52, v70, v19, v52
	v_mul_f16_sdwa v70, v71, v20 dst_sel:DWORD dst_unused:UNUSED_PAD src0_sel:DWORD src1_sel:WORD_1
	v_fma_f16 v70, v54, v20, -v70
	v_mul_f16_sdwa v54, v54, v20 dst_sel:DWORD dst_unused:UNUSED_PAD src0_sel:DWORD src1_sel:WORD_1
	v_sub_f16_e32 v57, v26, v57
	v_sub_f16_e32 v30, v55, v30
	;; [unrolled: 1-line block ×4, first 2 shown]
	v_fma_f16 v54, v71, v20, v54
	v_fma_f16 v26, v26, 2.0, -v57
	v_fma_f16 v55, v55, 2.0, -v30
	;; [unrolled: 1-line block ×4, first 2 shown]
	v_sub_f16_e32 v71, v26, v71
	v_sub_f16_e32 v28, v55, v28
	;; [unrolled: 1-line block ×3, first 2 shown]
	v_add_f16_e32 v58, v30, v58
	v_sub_f16_e32 v61, v27, v61
	v_sub_f16_e32 v31, v60, v31
	;; [unrolled: 1-line block ×4, first 2 shown]
	v_fma_f16 v26, v26, 2.0, -v71
	v_fma_f16 v55, v55, 2.0, -v28
	;; [unrolled: 1-line block ×8, first 2 shown]
	v_sub_f16_e32 v59, v27, v59
	v_sub_f16_e32 v29, v60, v29
	;; [unrolled: 1-line block ×3, first 2 shown]
	v_add_f16_e32 v62, v31, v62
	v_sub_f16_e32 v65, v34, v65
	v_sub_f16_e32 v51, v64, v51
	;; [unrolled: 1-line block ×4, first 2 shown]
	v_pack_b32_f16 v26, v26, v55
	v_pack_b32_f16 v30, v57, v30
	v_fma_f16 v27, v27, 2.0, -v59
	v_fma_f16 v60, v60, 2.0, -v29
	;; [unrolled: 1-line block ×8, first 2 shown]
	ds_write2_b32 v45, v26, v30 offset1:68
	v_pack_b32_f16 v26, v71, v28
	v_pack_b32_f16 v28, v32, v58
	v_sub_f16_e32 v63, v34, v63
	v_sub_f16_e32 v36, v64, v36
	;; [unrolled: 1-line block ×3, first 2 shown]
	v_add_f16_e32 v66, v51, v66
	v_sub_f16_e32 v69, v35, v69
	v_sub_f16_e32 v52, v68, v52
	;; [unrolled: 1-line block ×4, first 2 shown]
	ds_write2_b32 v45, v26, v28 offset0:136 offset1:204
	v_pack_b32_f16 v26, v27, v60
	v_pack_b32_f16 v27, v61, v31
	v_fma_f16 v34, v34, 2.0, -v63
	v_fma_f16 v64, v64, 2.0, -v36
	;; [unrolled: 1-line block ×8, first 2 shown]
	ds_write2_b32 v22, v26, v27 offset0:16 offset1:84
	v_pack_b32_f16 v26, v59, v29
	v_pack_b32_f16 v27, v33, v62
	v_add_lshl_u32 v55, v41, v46, 2
	v_sub_f16_e32 v67, v35, v67
	v_sub_f16_e32 v37, v68, v37
	;; [unrolled: 1-line block ×3, first 2 shown]
	v_add_f16_e32 v70, v52, v70
	ds_write2_b32 v22, v26, v27 offset0:152 offset1:220
	v_pack_b32_f16 v26, v34, v64
	v_pack_b32_f16 v27, v65, v51
	v_add_u32_e32 v28, 0x800, v55
	v_fma_f16 v35, v35, 2.0, -v67
	v_fma_f16 v68, v68, 2.0, -v37
	;; [unrolled: 1-line block ×4, first 2 shown]
	ds_write2_b32 v28, v26, v27 offset0:32 offset1:100
	v_pack_b32_f16 v26, v63, v36
	v_pack_b32_f16 v27, v53, v66
	ds_write2_b32 v28, v26, v27 offset0:168 offset1:236
	v_pack_b32_f16 v26, v35, v68
	v_pack_b32_f16 v27, v69, v52
	v_add_u32_e32 v28, 0xc00, v56
	ds_write2_b32 v28, v26, v27 offset0:48 offset1:116
	v_pack_b32_f16 v26, v67, v37
	v_pack_b32_f16 v27, v54, v70
	v_lshlrev_b32_e32 v46, 2, v38
	ds_write2_b32 v28, v26, v27 offset0:184 offset1:252
	s_waitcnt lgkmcnt(0)
	s_barrier
	global_load_dword v51, v46, s[2:3] offset:1020
	global_load_dword v52, v46, s[2:3] offset:1292
	;; [unrolled: 1-line block ×4, first 2 shown]
	ds_read2_b32 v[26:27], v45 offset1:68
	ds_read2_b32 v[28:29], v25 offset0:32 offset1:100
	ds_read2_b32 v[32:33], v25 offset0:168 offset1:236
	;; [unrolled: 1-line block ×5, first 2 shown]
	s_waitcnt lgkmcnt(4)
	v_lshrrev_b32_e32 v62, 16, v28
	v_lshrrev_b32_e32 v64, 16, v29
	s_waitcnt lgkmcnt(3)
	v_lshrrev_b32_e32 v66, 16, v32
	v_lshrrev_b32_e32 v68, 16, v33
	ds_read2_b32 v[57:58], v22 offset0:152 offset1:220
	ds_read2_b32 v[59:60], v24 offset0:184 offset1:252
	s_waitcnt lgkmcnt(4)
	v_lshrrev_b32_e32 v70, 16, v36
	v_lshrrev_b32_e32 v72, 16, v37
	;; [unrolled: 1-line block ×4, first 2 shown]
	s_waitcnt lgkmcnt(0)
	v_lshrrev_b32_e32 v74, 16, v59
	v_lshrrev_b32_e32 v76, 16, v60
	;; [unrolled: 1-line block ×6, first 2 shown]
	s_waitcnt vmcnt(0)
	s_barrier
	v_lshrrev_b32_e32 v73, 16, v57
	v_lshrrev_b32_e32 v75, 16, v58
	v_mul_f16_sdwa v77, v62, v51 dst_sel:DWORD dst_unused:UNUSED_PAD src0_sel:DWORD src1_sel:WORD_1
	v_fma_f16 v77, v28, v51, -v77
	v_mul_f16_sdwa v28, v28, v51 dst_sel:DWORD dst_unused:UNUSED_PAD src0_sel:DWORD src1_sel:WORD_1
	v_fma_f16 v28, v62, v51, v28
	v_mul_f16_sdwa v62, v64, v52 dst_sel:DWORD dst_unused:UNUSED_PAD src0_sel:DWORD src1_sel:WORD_1
	v_fma_f16 v62, v29, v52, -v62
	v_mul_f16_sdwa v29, v29, v52 dst_sel:DWORD dst_unused:UNUSED_PAD src0_sel:DWORD src1_sel:WORD_1
	v_fma_f16 v29, v64, v52, v29
	;; [unrolled: 4-line block ×8, first 2 shown]
	v_sub_f16_e32 v76, v26, v77
	v_sub_f16_e32 v28, v61, v28
	;; [unrolled: 1-line block ×4, first 2 shown]
	v_fma_f16 v26, v26, 2.0, -v76
	v_fma_f16 v61, v61, 2.0, -v28
	v_fma_f16 v27, v27, 2.0, -v62
	v_fma_f16 v63, v63, 2.0, -v29
	v_sub_f16_e32 v64, v30, v64
	v_sub_f16_e32 v32, v65, v32
	;; [unrolled: 1-line block ×4, first 2 shown]
	v_pack_b32_f16 v26, v26, v61
	v_pack_b32_f16 v27, v27, v63
	v_fma_f16 v30, v30, 2.0, -v64
	v_fma_f16 v65, v65, 2.0, -v32
	;; [unrolled: 1-line block ×4, first 2 shown]
	v_pack_b32_f16 v28, v76, v28
	ds_write2_b32 v45, v26, v27 offset1:68
	v_pack_b32_f16 v26, v62, v29
	v_sub_f16_e32 v68, v34, v68
	v_sub_f16_e32 v36, v69, v36
	;; [unrolled: 1-line block ×4, first 2 shown]
	ds_write2_b32 v22, v28, v26 offset0:16 offset1:84
	v_pack_b32_f16 v26, v30, v65
	v_pack_b32_f16 v28, v31, v67
	v_fma_f16 v34, v34, 2.0, -v68
	v_fma_f16 v69, v69, 2.0, -v36
	;; [unrolled: 1-line block ×4, first 2 shown]
	v_pack_b32_f16 v27, v64, v32
	ds_write2_b32 v45, v26, v28 offset0:136 offset1:204
	v_pack_b32_f16 v26, v66, v33
	v_sub_f16_e32 v72, v57, v72
	v_sub_f16_e32 v59, v73, v59
	;; [unrolled: 1-line block ×4, first 2 shown]
	ds_write2_b32 v22, v27, v26 offset0:152 offset1:220
	v_pack_b32_f16 v26, v34, v69
	v_pack_b32_f16 v28, v35, v71
	v_fma_f16 v57, v57, 2.0, -v72
	v_fma_f16 v73, v73, 2.0, -v59
	;; [unrolled: 1-line block ×4, first 2 shown]
	v_pack_b32_f16 v27, v68, v36
	ds_write2_b32 v25, v26, v28 offset0:32 offset1:100
	v_pack_b32_f16 v26, v70, v37
	ds_write2_b32 v24, v27, v26 offset0:48 offset1:116
	v_pack_b32_f16 v26, v57, v73
	v_pack_b32_f16 v28, v58, v75
	;; [unrolled: 1-line block ×3, first 2 shown]
	ds_write2_b32 v25, v26, v28 offset0:168 offset1:236
	v_pack_b32_f16 v26, v74, v60
	ds_write2_b32 v24, v27, v26 offset0:184 offset1:252
	s_waitcnt lgkmcnt(0)
	s_barrier
	global_load_dword v57, v46, s[2:3] offset:2108
	global_load_dword v58, v46, s[2:3] offset:2380
	;; [unrolled: 1-line block ×8, first 2 shown]
	ds_read2_b32 v[26:27], v45 offset1:68
	ds_read2_b32 v[28:29], v25 offset0:32 offset1:100
	ds_read2_b32 v[32:33], v25 offset0:168 offset1:236
	;; [unrolled: 1-line block ×5, first 2 shown]
	s_waitcnt lgkmcnt(4)
	v_lshrrev_b32_e32 v68, 16, v28
	ds_read2_b32 v[65:66], v22 offset0:152 offset1:220
	ds_read2_b32 v[24:25], v24 offset0:184 offset1:252
	v_lshrrev_b32_e32 v69, 16, v29
	s_waitcnt lgkmcnt(5)
	v_lshrrev_b32_e32 v70, 16, v32
	v_lshrrev_b32_e32 v71, 16, v33
	s_waitcnt lgkmcnt(4)
	v_lshrrev_b32_e32 v22, 16, v36
	s_waitcnt lgkmcnt(0)
	v_lshrrev_b32_e32 v75, 16, v24
	v_lshrrev_b32_e32 v78, 16, v25
	;; [unrolled: 1-line block ×11, first 2 shown]
	s_waitcnt vmcnt(7)
	v_mul_f16_sdwa v79, v68, v57 dst_sel:DWORD dst_unused:UNUSED_PAD src0_sel:DWORD src1_sel:WORD_1
	v_fma_f16 v79, v28, v57, -v79
	v_mul_f16_sdwa v28, v28, v57 dst_sel:DWORD dst_unused:UNUSED_PAD src0_sel:DWORD src1_sel:WORD_1
	v_fma_f16 v28, v68, v57, v28
	s_waitcnt vmcnt(6)
	v_mul_f16_sdwa v68, v69, v58 dst_sel:DWORD dst_unused:UNUSED_PAD src0_sel:DWORD src1_sel:WORD_1
	v_fma_f16 v81, v29, v58, -v68
	s_waitcnt vmcnt(5)
	v_mul_f16_sdwa v68, v70, v59 dst_sel:DWORD dst_unused:UNUSED_PAD src0_sel:DWORD src1_sel:WORD_1
	v_fma_f16 v83, v32, v59, -v68
	;; [unrolled: 3-line block ×5, first 2 shown]
	v_mul_f16_sdwa v24, v24, v63 dst_sel:DWORD dst_unused:UNUSED_PAD src0_sel:DWORD src1_sel:WORD_1
	v_fma_f16 v88, v75, v63, v24
	s_waitcnt vmcnt(0)
	v_mul_f16_sdwa v24, v78, v64 dst_sel:DWORD dst_unused:UNUSED_PAD src0_sel:DWORD src1_sel:WORD_1
	v_mul_f16_sdwa v36, v36, v61 dst_sel:DWORD dst_unused:UNUSED_PAD src0_sel:DWORD src1_sel:WORD_1
	v_fma_f16 v89, v25, v64, -v24
	v_mul_f16_sdwa v24, v25, v64 dst_sel:DWORD dst_unused:UNUSED_PAD src0_sel:DWORD src1_sel:WORD_1
	v_mul_f16_sdwa v29, v29, v58 dst_sel:DWORD dst_unused:UNUSED_PAD src0_sel:DWORD src1_sel:WORD_1
	;; [unrolled: 1-line block ×3, first 2 shown]
	v_fma_f16 v22, v22, v61, v36
	v_mul_f16_sdwa v36, v73, v62 dst_sel:DWORD dst_unused:UNUSED_PAD src0_sel:DWORD src1_sel:WORD_1
	v_fma_f16 v90, v78, v64, v24
	v_sub_f16_e32 v24, v26, v79
	v_fma_f16 v29, v69, v58, v29
	v_fma_f16 v32, v70, v59, v32
	v_mul_f16_sdwa v33, v33, v60 dst_sel:DWORD dst_unused:UNUSED_PAD src0_sel:DWORD src1_sel:WORD_1
	v_fma_f16 v36, v37, v62, -v36
	v_mul_f16_sdwa v37, v37, v62 dst_sel:DWORD dst_unused:UNUSED_PAD src0_sel:DWORD src1_sel:WORD_1
	v_sub_f16_e32 v70, v67, v28
	v_fma_f16 v68, v26, 2.0, -v24
	v_sub_f16_e32 v26, v27, v81
	v_sub_f16_e32 v28, v30, v83
	v_fma_f16 v33, v71, v60, v33
	v_fma_f16 v37, v73, v62, v37
	v_sub_f16_e32 v71, v72, v29
	v_fma_f16 v25, v27, 2.0, -v26
	v_sub_f16_e32 v73, v74, v32
	v_fma_f16 v27, v30, 2.0, -v28
	v_sub_f16_e32 v30, v31, v85
	v_sub_f16_e32 v32, v34, v86
	v_fma_f16 v69, v67, 2.0, -v70
	v_fma_f16 v72, v72, 2.0, -v71
	;; [unrolled: 1-line block ×3, first 2 shown]
	v_sub_f16_e32 v78, v77, v22
	v_fma_f16 v31, v34, 2.0, -v32
	v_sub_f16_e32 v34, v35, v36
	v_sub_f16_e32 v36, v65, v87
	;; [unrolled: 1-line block ×5, first 2 shown]
	v_fma_f16 v33, v35, 2.0, -v34
	v_fma_f16 v35, v65, 2.0, -v36
	;; [unrolled: 1-line block ×3, first 2 shown]
	v_lshl_add_u32 v65, v38, 2, v43
	v_pack_b32_f16 v66, v68, v69
	v_pack_b32_f16 v85, v25, v72
	v_fma_f16 v74, v74, 2.0, -v73
	v_fma_f16 v76, v76, 2.0, -v75
	v_pack_b32_f16 v67, v24, v70
	ds_write2_b32 v65, v66, v85 offset1:68
	v_pack_b32_f16 v66, v26, v71
	v_add_u32_e32 v85, 0x800, v65
	ds_write2_b32 v85, v67, v66 offset0:32 offset1:100
	v_pack_b32_f16 v66, v27, v74
	v_pack_b32_f16 v86, v29, v76
	v_fma_f16 v77, v77, 2.0, -v78
	v_fma_f16 v80, v80, 2.0, -v79
	v_pack_b32_f16 v67, v28, v73
	ds_write2_b32 v65, v66, v86 offset0:136 offset1:204
	v_pack_b32_f16 v66, v30, v75
	v_sub_f16_e32 v81, v82, v88
	ds_write2_b32 v85, v67, v66 offset0:168 offset1:236
	v_pack_b32_f16 v66, v31, v77
	v_pack_b32_f16 v85, v33, v80
	v_add_u32_e32 v86, 0x400, v65
	v_fma_f16 v82, v82, 2.0, -v81
	v_pack_b32_f16 v67, v32, v78
	ds_write2_b32 v86, v66, v85 offset0:16 offset1:84
	v_pack_b32_f16 v66, v34, v79
	v_add_u32_e32 v85, 0xc00, v65
	v_sub_f16_e32 v83, v84, v90
	ds_write2_b32 v85, v67, v66 offset0:48 offset1:116
	v_pack_b32_f16 v66, v35, v82
	v_fma_f16 v84, v84, 2.0, -v83
	ds_write_b32 v65, v66 offset:1632
	v_add_u32_e32 v66, v46, v43
	v_pack_b32_f16 v67, v36, v81
	ds_write_b32 v66, v67 offset:3808
	v_pack_b32_f16 v67, v37, v84
	ds_write_b32 v65, v67 offset:1904
	;; [unrolled: 2-line block ×3, first 2 shown]
	s_waitcnt lgkmcnt(0)
	s_barrier
	s_and_saveexec_b64 s[0:1], vcc
	s_cbranch_execz .LBB0_9
; %bb.8:
	s_add_u32 s2, s6, 0x1100
	s_addc_u32 s3, s7, 0
	global_load_dword v67, v39, s[2:3]
	global_load_dword v101, v39, s[2:3] offset:256
	global_load_dword v102, v39, s[2:3] offset:512
	;; [unrolled: 1-line block ×10, first 2 shown]
	ds_read_b32 v85, v42
	v_or_b32_e32 v86, 0x1000, v39
	global_load_dword v111, v39, s[2:3] offset:2816
	global_load_dword v112, v39, s[2:3] offset:3072
	;; [unrolled: 1-line block ×5, first 2 shown]
	global_load_dword v116, v86, s[2:3]
	s_waitcnt lgkmcnt(0)
	v_lshrrev_b32_e32 v86, 16, v85
	s_waitcnt vmcnt(16)
	v_mul_f16_sdwa v87, v86, v67 dst_sel:DWORD dst_unused:UNUSED_PAD src0_sel:DWORD src1_sel:WORD_1
	v_mul_f16_sdwa v88, v85, v67 dst_sel:DWORD dst_unused:UNUSED_PAD src0_sel:DWORD src1_sel:WORD_1
	v_fma_f16 v85, v85, v67, -v87
	v_fma_f16 v67, v86, v67, v88
	v_pack_b32_f16 v67, v85, v67
	ds_write_b32 v42, v67
	ds_read2st64_b32 v[85:86], v65 offset0:1 offset1:2
	ds_read2st64_b32 v[87:88], v65 offset0:3 offset1:4
	;; [unrolled: 1-line block ×8, first 2 shown]
	s_waitcnt lgkmcnt(7)
	v_lshrrev_b32_e32 v67, 16, v85
	s_waitcnt vmcnt(15)
	v_mul_f16_sdwa v117, v85, v101 dst_sel:DWORD dst_unused:UNUSED_PAD src0_sel:DWORD src1_sel:WORD_1
	v_lshrrev_b32_e32 v118, 16, v86
	s_waitcnt vmcnt(14)
	v_mul_f16_sdwa v119, v86, v102 dst_sel:DWORD dst_unused:UNUSED_PAD src0_sel:DWORD src1_sel:WORD_1
	s_waitcnt lgkmcnt(6)
	v_lshrrev_b32_e32 v120, 16, v87
	s_waitcnt vmcnt(13)
	v_mul_f16_sdwa v121, v87, v103 dst_sel:DWORD dst_unused:UNUSED_PAD src0_sel:DWORD src1_sel:WORD_1
	v_lshrrev_b32_e32 v122, 16, v88
	s_waitcnt vmcnt(12)
	v_mul_f16_sdwa v123, v88, v104 dst_sel:DWORD dst_unused:UNUSED_PAD src0_sel:DWORD src1_sel:WORD_1
	;; [unrolled: 7-line block ×3, first 2 shown]
	s_waitcnt lgkmcnt(4)
	v_lshrrev_b32_e32 v128, 16, v91
	s_waitcnt vmcnt(9)
	v_mul_f16_sdwa v129, v91, v107 dst_sel:DWORD dst_unused:UNUSED_PAD src0_sel:DWORD src1_sel:WORD_1
	v_lshrrev_b32_e32 v130, 16, v92
	v_mul_f16_sdwa v135, v67, v101 dst_sel:DWORD dst_unused:UNUSED_PAD src0_sel:DWORD src1_sel:WORD_1
	v_fma_f16 v67, v67, v101, v117
	v_mul_f16_sdwa v117, v118, v102 dst_sel:DWORD dst_unused:UNUSED_PAD src0_sel:DWORD src1_sel:WORD_1
	s_waitcnt vmcnt(8)
	v_mul_f16_sdwa v131, v92, v108 dst_sel:DWORD dst_unused:UNUSED_PAD src0_sel:DWORD src1_sel:WORD_1
	v_fma_f16 v118, v118, v102, v119
	v_mul_f16_sdwa v119, v120, v103 dst_sel:DWORD dst_unused:UNUSED_PAD src0_sel:DWORD src1_sel:WORD_1
	v_fma_f16 v120, v120, v103, v121
	;; [unrolled: 2-line block ×6, first 2 shown]
	v_mul_f16_sdwa v129, v130, v108 dst_sel:DWORD dst_unused:UNUSED_PAD src0_sel:DWORD src1_sel:WORD_1
	v_fma_f16 v85, v85, v101, -v135
	v_fma_f16 v86, v86, v102, -v117
	s_waitcnt lgkmcnt(3)
	v_lshrrev_b32_e32 v132, 16, v93
	s_waitcnt vmcnt(7)
	v_mul_f16_sdwa v133, v93, v109 dst_sel:DWORD dst_unused:UNUSED_PAD src0_sel:DWORD src1_sel:WORD_1
	v_lshrrev_b32_e32 v134, 16, v94
	v_fma_f16 v130, v130, v108, v131
	v_fma_f16 v87, v87, v103, -v119
	v_fma_f16 v88, v88, v104, -v121
	;; [unrolled: 1-line block ×6, first 2 shown]
	v_pack_b32_f16 v67, v85, v67
	v_pack_b32_f16 v85, v86, v118
	v_mul_f16_sdwa v131, v132, v109 dst_sel:DWORD dst_unused:UNUSED_PAD src0_sel:DWORD src1_sel:WORD_1
	v_fma_f16 v132, v132, v109, v133
	s_waitcnt vmcnt(6)
	v_mul_f16_sdwa v133, v134, v110 dst_sel:DWORD dst_unused:UNUSED_PAD src0_sel:DWORD src1_sel:WORD_1
	v_pack_b32_f16 v86, v87, v120
	v_pack_b32_f16 v87, v88, v122
	;; [unrolled: 1-line block ×6, first 2 shown]
	ds_write2st64_b32 v65, v67, v85 offset0:1 offset1:2
	ds_write2st64_b32 v65, v86, v87 offset0:3 offset1:4
	;; [unrolled: 1-line block ×4, first 2 shown]
	v_mul_f16_sdwa v85, v94, v110 dst_sel:DWORD dst_unused:UNUSED_PAD src0_sel:DWORD src1_sel:WORD_1
	v_fma_f16 v93, v93, v109, -v131
	v_fma_f16 v67, v94, v110, -v133
	v_fma_f16 v85, v134, v110, v85
	v_pack_b32_f16 v92, v93, v132
	v_pack_b32_f16 v67, v67, v85
	ds_write2st64_b32 v65, v92, v67 offset0:9 offset1:10
	s_waitcnt lgkmcnt(7)
	v_lshrrev_b32_e32 v67, 16, v95
	s_waitcnt vmcnt(5)
	v_mul_f16_sdwa v85, v67, v111 dst_sel:DWORD dst_unused:UNUSED_PAD src0_sel:DWORD src1_sel:WORD_1
	v_mul_f16_sdwa v86, v95, v111 dst_sel:DWORD dst_unused:UNUSED_PAD src0_sel:DWORD src1_sel:WORD_1
	v_fma_f16 v85, v95, v111, -v85
	v_fma_f16 v67, v67, v111, v86
	v_pack_b32_f16 v67, v85, v67
	v_lshrrev_b32_e32 v85, 16, v96
	s_waitcnt vmcnt(4)
	v_mul_f16_sdwa v86, v85, v112 dst_sel:DWORD dst_unused:UNUSED_PAD src0_sel:DWORD src1_sel:WORD_1
	v_mul_f16_sdwa v87, v96, v112 dst_sel:DWORD dst_unused:UNUSED_PAD src0_sel:DWORD src1_sel:WORD_1
	v_fma_f16 v86, v96, v112, -v86
	v_fma_f16 v85, v85, v112, v87
	v_pack_b32_f16 v85, v86, v85
	ds_write2st64_b32 v65, v67, v85 offset0:11 offset1:12
	s_waitcnt lgkmcnt(7)
	v_lshrrev_b32_e32 v67, 16, v97
	s_waitcnt vmcnt(3)
	v_mul_f16_sdwa v85, v67, v113 dst_sel:DWORD dst_unused:UNUSED_PAD src0_sel:DWORD src1_sel:WORD_1
	v_mul_f16_sdwa v86, v97, v113 dst_sel:DWORD dst_unused:UNUSED_PAD src0_sel:DWORD src1_sel:WORD_1
	v_fma_f16 v85, v97, v113, -v85
	v_fma_f16 v67, v67, v113, v86
	v_pack_b32_f16 v67, v85, v67
	v_lshrrev_b32_e32 v85, 16, v98
	s_waitcnt vmcnt(2)
	v_mul_f16_sdwa v86, v85, v114 dst_sel:DWORD dst_unused:UNUSED_PAD src0_sel:DWORD src1_sel:WORD_1
	v_mul_f16_sdwa v87, v98, v114 dst_sel:DWORD dst_unused:UNUSED_PAD src0_sel:DWORD src1_sel:WORD_1
	v_fma_f16 v86, v98, v114, -v86
	v_fma_f16 v85, v85, v114, v87
	;; [unrolled: 16-line block ×3, first 2 shown]
	v_pack_b32_f16 v85, v86, v85
	ds_write2st64_b32 v65, v67, v85 offset0:15 offset1:16
.LBB0_9:
	s_or_b64 exec, exec, s[0:1]
	s_waitcnt lgkmcnt(0)
	s_barrier
	s_and_saveexec_b64 s[0:1], vcc
	s_cbranch_execz .LBB0_11
; %bb.10:
	ds_read_b32 v68, v42
	ds_read2st64_b32 v[24:25], v65 offset0:1 offset1:2
	ds_read2st64_b32 v[26:27], v65 offset0:3 offset1:4
	;; [unrolled: 1-line block ×8, first 2 shown]
	s_waitcnt lgkmcnt(8)
	v_lshrrev_b32_e32 v69, 16, v68
	s_waitcnt lgkmcnt(7)
	v_lshrrev_b32_e32 v70, 16, v24
	v_lshrrev_b32_e32 v72, 16, v25
	s_waitcnt lgkmcnt(6)
	v_lshrrev_b32_e32 v71, 16, v26
	;; [unrolled: 3-line block ×8, first 2 shown]
	v_lshrrev_b32_e32 v44, 16, v23
.LBB0_11:
	s_or_b64 exec, exec, s[0:1]
	v_add_u32_e32 v67, 0x660, v66
	v_add_u32_e32 v66, 0x770, v66
	s_barrier
	s_and_saveexec_b64 s[0:1], vcc
	s_cbranch_execz .LBB0_13
; %bb.12:
	v_sub_f16_e32 v85, v24, v23
	v_mul_f16_e32 v114, 0xb964, v85
	v_add_f16_e32 v104, v44, v70
	s_movk_i32 s2, 0x39e9
	v_sub_f16_e32 v87, v25, v22
	v_fma_f16 v86, v104, s2, v114
	v_mul_f16_e32 v117, 0xbbf7, v87
	v_add_f16_e32 v105, v83, v72
	s_movk_i32 s3, 0x2de8
	v_add_f16_e32 v86, v69, v86
	v_fma_f16 v88, v105, s3, v117
	v_add_f16_e32 v86, v88, v86
	v_sub_f16_e32 v88, v26, v37
	v_mul_f16_e32 v122, 0xba62, v88
	v_add_f16_e32 v106, v84, v71
	s_mov_b32 s4, 0xb8d2
	v_fma_f16 v89, v106, s4, v122
	v_add_f16_e32 v86, v89, v86
	v_sub_f16_e32 v89, v27, v36
	v_mul_f16_e32 v125, 0xb1e1, v89
	v_add_f16_e32 v108, v81, v74
	s_mov_b32 s5, 0xbbdd
	;; [unrolled: 6-line block ×4, first 2 shown]
	v_fma_f16 v92, v110, s19, v127
	v_add_f16_e32 v86, v92, v86
	v_sub_f16_e32 v92, v30, v33
	v_mul_f16_e32 v128, 0x3b29, v92
	v_add_f16_e32 v111, v80, v75
	s_movk_i32 s20, 0x3722
	v_fma_f16 v93, v111, s20, v128
	v_add_f16_e32 v86, v93, v86
	v_sub_f16_e32 v93, v31, v32
	v_mul_f16_e32 v130, 0x35c8, v93
	v_add_f16_e32 v112, v78, v77
	s_movk_i32 s21, 0x3b76
	v_fma_f16 v94, v112, s21, v130
	v_sub_f16_e32 v113, v70, v44
	v_add_f16_e32 v86, v94, v86
	v_add_f16_e32 v94, v23, v24
	v_mul_f16_e32 v131, 0xb964, v113
	v_sub_f16_e32 v115, v72, v83
	v_fma_f16 v95, v94, s2, -v131
	v_add_f16_e32 v96, v22, v25
	v_mul_f16_e32 v132, 0xbbf7, v115
	v_add_f16_e32 v95, v68, v95
	v_fma_f16 v97, v96, s3, -v132
	v_sub_f16_e32 v116, v71, v84
	v_add_f16_e32 v95, v97, v95
	v_add_f16_e32 v97, v37, v26
	v_mul_f16_e32 v133, 0xba62, v116
	v_fma_f16 v98, v97, s4, -v133
	v_sub_f16_e32 v118, v74, v81
	v_add_f16_e32 v95, v98, v95
	v_add_f16_e32 v98, v36, v27
	v_mul_f16_e32 v134, 0xb1e1, v118
	v_fma_f16 v99, v98, s5, -v134
	v_sub_f16_e32 v119, v73, v82
	v_add_f16_e32 v95, v99, v95
	v_add_f16_e32 v99, v35, v28
	v_mul_f16_e32 v135, 0x3836, v119
	v_fma_f16 v100, v99, s16, -v135
	v_sub_f16_e32 v121, v76, v79
	v_add_f16_e32 v95, v100, v95
	v_add_f16_e32 v100, v34, v29
	v_mul_f16_e32 v136, 0x3bb2, v121
	v_fma_f16 v101, v100, s19, -v136
	v_sub_f16_e32 v123, v75, v80
	v_add_f16_e32 v95, v101, v95
	v_add_f16_e32 v101, v33, v30
	v_mul_f16_e32 v138, 0x3b29, v123
	v_fma_f16 v102, v101, s20, -v138
	v_sub_f16_e32 v124, v77, v78
	v_add_f16_e32 v95, v102, v95
	v_add_f16_e32 v102, v32, v31
	v_mul_f16_e32 v139, 0x35c8, v124
	v_fma_f16 v103, v102, s21, -v139
	v_mul_f16_e32 v140, 0xbb29, v85
	v_add_f16_e32 v95, v103, v95
	v_fma_f16 v103, v104, s20, v140
	v_mul_f16_e32 v141, 0xba62, v87
	v_add_f16_e32 v103, v69, v103
	v_fma_f16 v107, v105, s4, v141
	;; [unrolled: 3-line block ×8, first 2 shown]
	v_mul_f16_e32 v148, 0xbb29, v113
	v_add_f16_e32 v103, v107, v103
	v_fma_f16 v107, v94, s20, -v148
	v_mul_f16_e32 v149, 0xba62, v115
	v_add_f16_e32 v107, v68, v107
	v_fma_f16 v120, v96, s4, -v149
	;; [unrolled: 3-line block ×8, first 2 shown]
	v_mul_f16_e32 v156, 0xbbf7, v85
	v_add_f16_e32 v107, v120, v107
	v_fma_f16 v120, v104, s3, v156
	v_mul_f16_e32 v157, 0xb1e1, v87
	v_add_f16_e32 v120, v69, v120
	v_fma_f16 v129, v105, s5, v157
	;; [unrolled: 3-line block ×8, first 2 shown]
	v_mul_f16_e32 v164, 0xbbf7, v113
	v_add_f16_e32 v120, v129, v120
	v_fma_f16 v129, v94, s3, -v164
	v_mul_f16_e32 v165, 0xb1e1, v115
	v_add_f16_e32 v129, v68, v129
	v_fma_f16 v137, v96, s5, -v165
	;; [unrolled: 3-line block ×8, first 2 shown]
	v_mul_f16_e32 v172, 0xbbb2, v85
	v_add_f16_e32 v129, v137, v129
	v_fma_f16 v137, v104, s19, v172
	v_mul_f16_e32 v173, 0x3836, v87
	v_add_f16_e32 v137, v69, v137
	v_fma_f16 v174, v105, s16, v173
	v_add_f16_e32 v137, v174, v137
	v_mul_f16_e32 v174, 0x3964, v88
	v_fma_f16 v175, v106, s2, v174
	v_add_f16_e32 v137, v175, v137
	v_mul_f16_e32 v175, 0xbb29, v89
	;; [unrolled: 3-line block ×7, first 2 shown]
	v_fma_f16 v181, v94, s19, -v180
	v_mul_f16_e32 v182, 0x3836, v115
	v_add_f16_e32 v181, v68, v181
	v_fma_f16 v183, v96, s16, -v182
	v_add_f16_e32 v181, v183, v181
	v_mul_f16_e32 v183, 0x3964, v116
	v_fma_f16 v184, v97, s2, -v183
	v_add_f16_e32 v181, v184, v181
	v_mul_f16_e32 v184, 0xbb29, v118
	;; [unrolled: 3-line block ×7, first 2 shown]
	v_fma_f16 v190, v104, s4, v189
	v_mul_f16_e32 v191, 0x3bb2, v87
	v_add_f16_e32 v190, v69, v190
	v_fma_f16 v192, v105, s19, v191
	v_add_f16_e32 v190, v192, v190
	v_mul_f16_e32 v192, 0xb5c8, v88
	v_fma_f16 v193, v106, s21, v192
	v_add_f16_e32 v190, v193, v190
	v_mul_f16_e32 v193, 0xb836, v89
	;; [unrolled: 3-line block ×7, first 2 shown]
	v_fma_f16 v199, v94, s4, -v198
	v_mul_f16_e32 v200, 0x3bb2, v115
	v_add_f16_e32 v199, v68, v199
	v_fma_f16 v201, v96, s19, -v200
	v_add_f16_e32 v199, v201, v199
	v_mul_f16_e32 v201, 0xb5c8, v116
	v_fma_f16 v202, v97, s21, -v201
	v_add_f16_e32 v199, v202, v199
	v_mul_f16_e32 v202, 0xb836, v118
	;; [unrolled: 3-line block ×7, first 2 shown]
	v_fma_f16 v208, v104, s16, v207
	v_mul_f16_e32 v209, 0x3b29, v87
	v_add_f16_e32 v208, v69, v208
	v_fma_f16 v210, v105, s20, v209
	v_add_f16_e32 v208, v210, v208
	v_mul_f16_e32 v210, 0xbbf7, v88
	v_fma_f16 v211, v106, s3, v210
	v_add_f16_e32 v208, v211, v208
	v_mul_f16_e32 v211, 0x3a62, v89
	;; [unrolled: 3-line block ×7, first 2 shown]
	v_fma_f16 v217, v94, s16, -v216
	v_mul_f16_e32 v218, 0x3b29, v115
	v_add_f16_e32 v217, v68, v217
	v_fma_f16 v219, v96, s20, -v218
	v_add_f16_e32 v217, v219, v217
	v_mul_f16_e32 v219, 0xbbf7, v116
	v_fma_f16 v220, v97, s3, -v219
	v_add_f16_e32 v217, v220, v217
	v_mul_f16_e32 v220, 0x3a62, v118
	;; [unrolled: 3-line block ×6, first 2 shown]
	v_fma_f16 v114, v104, s2, -v114
	v_fma_f16 v225, v102, s19, -v224
	v_add_f16_e32 v114, v69, v114
	v_fma_f16 v117, v105, s3, -v117
	v_add_f16_e32 v217, v225, v217
	v_mul_f16_e32 v225, 0xb1e1, v85
	v_add_f16_e32 v114, v117, v114
	v_fma_f16 v117, v106, s4, -v122
	v_add_f16_e32 v24, v24, v68
	v_fma_f16 v226, v104, s5, v225
	v_mul_f16_e32 v227, 0x35c8, v87
	v_add_f16_e32 v114, v117, v114
	v_fma_f16 v117, v108, s5, -v125
	v_add_f16_e32 v24, v25, v24
	v_add_f16_e32 v226, v69, v226
	v_fma_f16 v228, v105, s21, v227
	v_add_f16_e32 v114, v117, v114
	v_fma_f16 v117, v109, s16, -v126
	v_add_f16_e32 v24, v26, v24
	v_add_f16_e32 v226, v228, v226
	v_mul_f16_e32 v228, 0xb836, v88
	v_add_f16_e32 v114, v117, v114
	v_fma_f16 v117, v110, s19, -v127
	v_add_f16_e32 v24, v27, v24
	v_fma_f16 v229, v106, s16, v228
	v_add_f16_e32 v114, v117, v114
	v_fma_f16 v117, v111, s20, -v128
	v_add_f16_e32 v24, v28, v24
	v_add_f16_e32 v226, v229, v226
	v_mul_f16_e32 v229, 0x3964, v89
	v_add_f16_e32 v114, v117, v114
	v_fma_f16 v117, v112, s21, -v130
	v_add_f16_e32 v24, v29, v24
	v_fma_f16 v230, v108, s2, v229
	v_add_f16_e32 v114, v117, v114
	v_fma_f16 v117, v94, s2, v131
	v_add_f16_e32 v24, v30, v24
	v_add_f16_e32 v226, v230, v226
	v_mul_f16_e32 v230, 0xba62, v90
	v_add_f16_e32 v117, v68, v117
	v_fma_f16 v122, v96, s3, v132
	v_add_f16_e32 v24, v31, v24
	v_fma_f16 v231, v109, s4, v230
	v_add_f16_e32 v117, v122, v117
	v_fma_f16 v122, v97, s4, v133
	v_add_f16_e32 v24, v32, v24
	v_add_f16_e32 v226, v231, v226
	v_mul_f16_e32 v231, 0x3b29, v91
	v_add_f16_e32 v117, v122, v117
	v_fma_f16 v122, v98, s5, v134
	;; [unrolled: 9-line block ×3, first 2 shown]
	v_add_f16_e32 v24, v35, v24
	v_fma_f16 v233, v111, s19, v232
	v_add_f16_e32 v117, v122, v117
	v_fma_f16 v122, v101, s20, v138
	v_add_f16_e32 v24, v36, v24
	s_movk_i32 s28, 0x35c8
	s_mov_b32 s26, 0xb5c8
	v_add_f16_e32 v226, v233, v226
	v_mul_f16_e32 v233, 0x3bf7, v93
	v_fma_f16 v225, v104, s5, -v225
	v_fma_f16 v207, v104, s16, -v207
	v_fma_f16 v189, v104, s4, -v189
	v_fma_f16 v172, v104, s19, -v172
	v_fma_f16 v156, v104, s3, -v156
	v_fma_f16 v140, v104, s20, -v140
	v_add_f16_e32 v117, v122, v117
	v_fma_f16 v122, v102, s21, v139
	v_mul_f16_e32 v104, 0x3b76, v104
	v_add_f16_e32 v24, v37, v24
	s_mov_b32 s14, 0xb964
	s_movk_i32 s30, 0x3964
	v_fma_f16 v234, v112, s3, v233
	v_add_f16_e32 v225, v69, v225
	v_fma_f16 v227, v105, s21, -v227
	v_add_f16_e32 v207, v69, v207
	v_fma_f16 v209, v105, s20, -v209
	;; [unrolled: 2-line block ×6, first 2 shown]
	v_add_f16_e32 v117, v122, v117
	v_fma_f16 v122, v85, s28, v104
	v_mul_f16_e32 v105, 0x39e9, v105
	v_add_f16_e32 v22, v22, v24
	v_fma_f16 v24, v85, s26, v104
	s_movk_i32 s27, 0x3b29
	s_mov_b32 s23, 0xbb29
	v_add_f16_e32 v226, v234, v226
	v_mul_f16_e32 v234, 0xb1e1, v113
	v_add_f16_e32 v225, v227, v225
	v_fma_f16 v227, v106, s16, -v228
	v_add_f16_e32 v207, v209, v207
	v_fma_f16 v209, v106, s3, -v210
	;; [unrolled: 2-line block ×6, first 2 shown]
	v_add_f16_e32 v122, v69, v122
	v_fma_f16 v125, v87, s30, v105
	v_mul_f16_e32 v106, 0x3722, v106
	v_add_f16_e32 v22, v23, v22
	v_add_f16_e32 v23, v70, v69
	;; [unrolled: 1-line block ×3, first 2 shown]
	v_fma_f16 v25, v87, s14, v105
	s_mov_b32 s15, 0xbbf7
	s_movk_i32 s34, 0x3bf7
	v_fma_f16 v235, v94, s5, -v234
	v_mul_f16_e32 v236, 0x35c8, v115
	v_add_f16_e32 v225, v227, v225
	v_fma_f16 v227, v108, s2, -v229
	v_add_f16_e32 v207, v209, v207
	v_fma_f16 v209, v108, s4, -v211
	v_add_f16_e32 v189, v191, v189
	v_fma_f16 v191, v108, s16, -v193
	v_add_f16_e32 v172, v173, v172
	v_fma_f16 v173, v108, s20, -v175
	v_add_f16_e32 v156, v157, v156
	v_fma_f16 v157, v108, s21, -v159
	v_add_f16_e32 v140, v141, v140
	v_fma_f16 v141, v108, s19, -v143
	v_add_f16_e32 v122, v125, v122
	v_fma_f16 v125, v88, s27, v106
	v_mul_f16_e32 v108, 0x2de8, v108
	v_add_f16_e32 v23, v72, v23
	v_add_f16_e32 v24, v25, v24
	v_fma_f16 v25, v88, s23, v106
	s_movk_i32 s24, 0x3bb2
	s_mov_b32 s31, 0xbbb2
	v_add_f16_e32 v235, v68, v235
	v_fma_f16 v237, v96, s21, -v236
	v_add_f16_e32 v225, v227, v225
	v_fma_f16 v227, v109, s4, -v230
	v_add_f16_e32 v207, v209, v207
	v_fma_f16 v209, v109, s21, -v212
	v_add_f16_e32 v189, v191, v189
	v_fma_f16 v191, v109, s3, -v194
	v_add_f16_e32 v172, v173, v172
	v_fma_f16 v173, v109, s5, -v176
	v_add_f16_e32 v156, v157, v156
	v_fma_f16 v157, v109, s20, -v160
	v_add_f16_e32 v140, v141, v140
	v_fma_f16 v141, v109, s2, -v144
	v_add_f16_e32 v122, v125, v122
	v_fma_f16 v125, v89, s34, v108
	v_mul_f16_e32 v109, 0xb461, v109
	v_add_f16_e32 v23, v71, v23
	v_add_f16_e32 v24, v25, v24
	v_fma_f16 v25, v89, s15, v108
	s_mov_b32 s17, 0xba62
	s_movk_i32 s33, 0x3a62
	v_add_f16_e32 v235, v237, v235
	v_mul_f16_e32 v237, 0xb836, v116
	v_add_f16_e32 v225, v227, v225
	v_fma_f16 v227, v110, s20, -v231
	v_add_f16_e32 v207, v209, v207
	v_fma_f16 v209, v110, s5, -v213
	v_add_f16_e32 v189, v191, v189
	v_fma_f16 v191, v110, s2, -v195
	v_add_f16_e32 v172, v173, v172
	v_fma_f16 v173, v110, s3, -v177
	v_add_f16_e32 v156, v157, v156
	v_fma_f16 v157, v110, s16, -v161
	v_add_f16_e32 v140, v141, v140
	v_fma_f16 v141, v110, s21, -v145
	v_add_f16_e32 v122, v125, v122
	v_fma_f16 v125, v90, s24, v109
	v_mul_f16_e32 v110, 0xb8d2, v110
	v_add_f16_e32 v23, v74, v23
	v_add_f16_e32 v24, v25, v24
	v_fma_f16 v25, v90, s31, v109
	s_movk_i32 s22, 0x3836
	s_mov_b32 s25, 0xb836
	v_fma_f16 v238, v97, s16, -v237
	v_add_f16_e32 v225, v227, v225
	v_fma_f16 v227, v111, s19, -v232
	v_add_f16_e32 v207, v209, v207
	v_fma_f16 v209, v111, s2, -v214
	v_add_f16_e32 v189, v191, v189
	v_fma_f16 v191, v111, s5, -v196
	v_add_f16_e32 v172, v173, v172
	v_fma_f16 v173, v111, s21, -v178
	v_add_f16_e32 v156, v157, v156
	v_fma_f16 v157, v111, s4, -v162
	v_add_f16_e32 v140, v141, v140
	v_fma_f16 v141, v111, s3, -v146
	v_add_f16_e32 v122, v125, v122
	v_fma_f16 v125, v91, s33, v110
	v_mul_f16_e32 v111, 0xbacd, v111
	v_add_f16_e32 v23, v73, v23
	v_add_f16_e32 v24, v25, v24
	v_fma_f16 v25, v91, s17, v110
	s_mov_b32 s18, 0xb1e1
	s_movk_i32 s29, 0x31e1
	v_add_f16_e32 v235, v238, v235
	v_mul_f16_e32 v238, 0x3964, v118
	v_add_f16_e32 v225, v227, v225
	v_fma_f16 v227, v112, s3, -v233
	v_add_f16_e32 v207, v209, v207
	v_fma_f16 v209, v112, s19, -v215
	;; [unrolled: 2-line block ×6, first 2 shown]
	v_add_f16_e32 v122, v125, v122
	v_fma_f16 v125, v92, s22, v111
	v_mul_f16_e32 v112, 0xbbdd, v112
	v_add_f16_e32 v23, v76, v23
	v_add_f16_e32 v24, v25, v24
	v_fma_f16 v25, v92, s25, v111
	v_fma_f16 v239, v98, s2, -v238
	v_add_f16_e32 v122, v125, v122
	v_fma_f16 v125, v93, s29, v112
	v_mul_f16_e32 v113, 0xb5c8, v113
	v_add_f16_e32 v23, v75, v23
	v_add_f16_e32 v24, v25, v24
	v_fma_f16 v25, v93, s18, v112
	v_add_f16_e32 v235, v239, v235
	v_mul_f16_e32 v239, 0xba62, v119
	v_add_f16_e32 v122, v125, v122
	v_fma_f16 v125, v94, s21, v113
	v_mul_f16_e32 v115, 0xb964, v115
	v_add_f16_e32 v23, v77, v23
	v_add_f16_e32 v24, v25, v24
	v_fma_f16 v25, v94, s21, -v113
	v_fma_f16 v240, v99, s4, -v239
	v_add_f16_e32 v140, v141, v140
	v_fma_f16 v141, v94, s20, v148
	v_add_f16_e32 v125, v68, v125
	v_fma_f16 v126, v96, s2, v115
	v_mul_f16_e32 v116, 0xbb29, v116
	v_add_f16_e32 v23, v78, v23
	v_add_f16_e32 v25, v68, v25
	v_fma_f16 v26, v96, s2, -v115
	v_add_f16_e32 v235, v240, v235
	v_mul_f16_e32 v240, 0x3b29, v121
	v_add_f16_e32 v172, v173, v172
	v_fma_f16 v173, v94, s19, v180
	v_add_f16_e32 v156, v157, v156
	v_fma_f16 v157, v94, s3, v164
	;; [unrolled: 2-line block ×4, first 2 shown]
	v_mul_f16_e32 v118, 0xbbf7, v118
	v_add_f16_e32 v23, v80, v23
	v_add_f16_e32 v25, v26, v25
	v_fma_f16 v26, v97, s20, -v116
	v_fma_f16 v241, v100, s20, -v240
	v_add_f16_e32 v207, v209, v207
	v_fma_f16 v209, v94, s16, v216
	v_add_f16_e32 v189, v191, v189
	v_fma_f16 v191, v94, s4, v198
	v_add_f16_e32 v173, v68, v173
	v_fma_f16 v174, v96, s16, v182
	v_add_f16_e32 v157, v68, v157
	v_fma_f16 v158, v96, s5, v165
	v_add_f16_e32 v141, v142, v141
	v_fma_f16 v142, v97, s5, v150
	v_add_f16_e32 v125, v126, v125
	v_fma_f16 v126, v98, s3, v118
	v_mul_f16_e32 v119, 0xbbb2, v119
	v_add_f16_e32 v23, v79, v23
	v_add_f16_e32 v25, v26, v25
	v_fma_f16 v26, v98, s3, -v118
	v_add_f16_e32 v235, v241, v235
	v_mul_f16_e32 v241, 0xbbb2, v123
	v_add_f16_e32 v225, v227, v225
	v_fma_f16 v227, v94, s5, v234
	v_add_f16_e32 v209, v68, v209
	v_fma_f16 v210, v96, s20, v218
	;; [unrolled: 2-line block ×7, first 2 shown]
	v_mul_f16_e32 v121, 0xba62, v121
	v_add_f16_e32 v23, v82, v23
	v_add_f16_e32 v25, v26, v25
	v_fma_f16 v26, v99, s19, -v119
	v_fma_f16 v242, v101, s19, -v241
	v_add_f16_e32 v227, v68, v227
	v_fma_f16 v228, v96, s21, v236
	v_add_f16_e32 v209, v210, v209
	v_fma_f16 v210, v97, s3, v219
	;; [unrolled: 2-line block ×7, first 2 shown]
	v_mul_f16_e32 v123, 0xb836, v123
	v_add_f16_e32 v23, v81, v23
	v_add_f16_e32 v25, v26, v25
	v_fma_f16 v26, v100, s4, -v121
	v_add_f16_e32 v235, v242, v235
	v_mul_f16_e32 v242, 0x3bf7, v124
	v_add_f16_e32 v227, v228, v227
	v_fma_f16 v228, v97, s16, v237
	v_add_f16_e32 v209, v210, v209
	v_fma_f16 v210, v98, s4, v220
	;; [unrolled: 2-line block ×7, first 2 shown]
	v_mul_f16_e32 v124, 0xb1e1, v124
	v_add_f16_e32 v23, v84, v23
	v_add_f16_e32 v25, v26, v25
	v_fma_f16 v26, v101, s16, -v123
	v_add_f16_e32 v227, v228, v227
	v_fma_f16 v228, v98, s2, v238
	v_add_f16_e32 v209, v210, v209
	v_fma_f16 v210, v99, s21, v221
	;; [unrolled: 2-line block ×7, first 2 shown]
	v_add_f16_e32 v23, v83, v23
	v_add_f16_e32 v25, v26, v25
	v_fma_f16 v26, v102, s5, -v124
	v_add_f16_e32 v227, v228, v227
	v_fma_f16 v228, v99, s4, v239
	v_add_f16_e32 v209, v210, v209
	v_fma_f16 v210, v100, s5, v222
	v_add_f16_e32 v191, v192, v191
	v_fma_f16 v192, v100, s2, v204
	v_add_f16_e32 v173, v174, v173
	v_fma_f16 v174, v101, s21, v187
	v_add_f16_e32 v157, v158, v157
	v_fma_f16 v158, v101, s4, v170
	v_add_f16_e32 v141, v142, v141
	v_fma_f16 v142, v102, s16, v155
	v_add_f16_e32 v125, v126, v125
	v_add_f16_e32 v23, v44, v23
	;; [unrolled: 1-line block ×3, first 2 shown]
	v_mul_lo_u16_e32 v26, 17, v38
	v_add_f16_e32 v227, v228, v227
	v_fma_f16 v228, v100, s20, v240
	v_add_f16_e32 v209, v210, v209
	v_fma_f16 v210, v101, s2, v223
	;; [unrolled: 2-line block ×5, first 2 shown]
	v_add_f16_e32 v141, v142, v141
	v_lshl_add_u32 v26, v26, 2, v43
	v_pack_b32_f16 v27, v125, v122
	v_pack_b32_f16 v22, v22, v23
	v_add_f16_e32 v227, v228, v227
	v_fma_f16 v228, v101, s19, v241
	v_add_f16_e32 v209, v210, v209
	v_fma_f16 v210, v102, s19, v224
	;; [unrolled: 2-line block ×3, first 2 shown]
	v_add_f16_e32 v173, v174, v173
	v_add_f16_e32 v157, v158, v157
	ds_write2_b32 v26, v22, v27 offset1:1
	v_pack_b32_f16 v22, v141, v140
	v_pack_b32_f16 v23, v117, v114
	v_fma_f16 v243, v102, s3, -v242
	v_add_f16_e32 v227, v228, v227
	v_fma_f16 v228, v102, s3, v242
	v_add_f16_e32 v209, v210, v209
	v_add_f16_e32 v191, v192, v191
	ds_write2_b32 v26, v23, v22 offset0:2 offset1:3
	v_pack_b32_f16 v22, v173, v172
	v_pack_b32_f16 v23, v157, v156
	v_add_f16_e32 v235, v243, v235
	v_add_f16_e32 v227, v228, v227
	ds_write2_b32 v26, v23, v22 offset0:4 offset1:5
	v_pack_b32_f16 v22, v209, v207
	v_pack_b32_f16 v23, v191, v189
	ds_write2_b32 v26, v23, v22 offset0:6 offset1:7
	v_pack_b32_f16 v22, v235, v226
	v_pack_b32_f16 v23, v227, v225
	;; [unrolled: 3-line block ×5, first 2 shown]
	ds_write2_b32 v26, v23, v22 offset0:14 offset1:15
	v_pack_b32_f16 v22, v25, v24
	ds_write_b32 v26, v22 offset:64
.LBB0_13:
	s_or_b64 exec, exec, s[0:1]
	v_add_u32_e32 v22, 0x400, v45
	s_waitcnt lgkmcnt(0)
	s_barrier
	ds_read2_b32 v[27:28], v22 offset0:16 offset1:84
	v_add_u32_e32 v24, 0x800, v45
	ds_read2_b32 v[29:30], v24 offset0:32 offset1:100
	v_add_u32_e32 v23, 0xc00, v45
	ds_read2_b32 v[31:32], v23 offset0:48 offset1:116
	s_waitcnt lgkmcnt(2)
	v_lshrrev_b32_e32 v70, 16, v27
	v_mul_f16_sdwa v85, v6, v70 dst_sel:DWORD dst_unused:UNUSED_PAD src0_sel:WORD_1 src1_sel:DWORD
	s_waitcnt lgkmcnt(1)
	v_lshrrev_b32_e32 v71, 16, v29
	v_fma_f16 v85, v6, v27, v85
	v_mul_f16_sdwa v27, v6, v27 dst_sel:DWORD dst_unused:UNUSED_PAD src0_sel:WORD_1 src1_sel:DWORD
	v_fma_f16 v6, v6, v70, -v27
	v_mul_f16_sdwa v27, v7, v71 dst_sel:DWORD dst_unused:UNUSED_PAD src0_sel:WORD_1 src1_sel:DWORD
	s_waitcnt lgkmcnt(0)
	v_lshrrev_b32_e32 v72, 16, v31
	v_fma_f16 v27, v7, v29, v27
	v_mul_f16_sdwa v29, v7, v29 dst_sel:DWORD dst_unused:UNUSED_PAD src0_sel:WORD_1 src1_sel:DWORD
	v_fma_f16 v7, v7, v71, -v29
	v_mul_f16_sdwa v29, v8, v72 dst_sel:DWORD dst_unused:UNUSED_PAD src0_sel:WORD_1 src1_sel:DWORD
	v_lshrrev_b32_e32 v74, 16, v28
	v_fma_f16 v29, v8, v31, v29
	v_mul_f16_sdwa v31, v8, v31 dst_sel:DWORD dst_unused:UNUSED_PAD src0_sel:WORD_1 src1_sel:DWORD
	v_fma_f16 v8, v8, v72, -v31
	v_mul_f16_sdwa v31, v0, v74 dst_sel:DWORD dst_unused:UNUSED_PAD src0_sel:WORD_1 src1_sel:DWORD
	v_lshrrev_b32_e32 v75, 16, v30
	v_fma_f16 v31, v0, v28, v31
	v_mul_f16_sdwa v28, v0, v28 dst_sel:DWORD dst_unused:UNUSED_PAD src0_sel:WORD_1 src1_sel:DWORD
	ds_read2_b32 v[25:26], v45 offset1:68
	ds_read2_b32 v[33:34], v45 offset0:136 offset1:204
	ds_read2_b32 v[35:36], v22 offset0:152 offset1:220
	;; [unrolled: 1-line block ×4, first 2 shown]
	v_fma_f16 v0, v0, v74, -v28
	v_mul_f16_sdwa v28, v1, v75 dst_sel:DWORD dst_unused:UNUSED_PAD src0_sel:WORD_1 src1_sel:DWORD
	v_lshrrev_b32_e32 v76, 16, v32
	v_fma_f16 v28, v1, v30, v28
	v_mul_f16_sdwa v30, v1, v30 dst_sel:DWORD dst_unused:UNUSED_PAD src0_sel:WORD_1 src1_sel:DWORD
	v_fma_f16 v1, v1, v75, -v30
	v_mul_f16_sdwa v30, v2, v76 dst_sel:DWORD dst_unused:UNUSED_PAD src0_sel:WORD_1 src1_sel:DWORD
	s_waitcnt lgkmcnt(2)
	v_lshrrev_b32_e32 v78, 16, v35
	v_fma_f16 v30, v2, v32, v30
	v_mul_f16_sdwa v32, v2, v32 dst_sel:DWORD dst_unused:UNUSED_PAD src0_sel:WORD_1 src1_sel:DWORD
	v_fma_f16 v2, v2, v76, -v32
	v_mul_f16_sdwa v32, v3, v78 dst_sel:DWORD dst_unused:UNUSED_PAD src0_sel:WORD_1 src1_sel:DWORD
	s_waitcnt lgkmcnt(1)
	;; [unrolled: 6-line block ×3, first 2 shown]
	v_lshrrev_b32_e32 v80, 16, v68
	v_fma_f16 v35, v4, v43, v35
	v_mul_f16_sdwa v43, v4, v43 dst_sel:DWORD dst_unused:UNUSED_PAD src0_sel:WORD_1 src1_sel:DWORD
	v_fma_f16 v4, v4, v79, -v43
	v_mul_f16_sdwa v43, v5, v80 dst_sel:DWORD dst_unused:UNUSED_PAD src0_sel:WORD_1 src1_sel:DWORD
	v_lshrrev_b32_e32 v82, 16, v36
	v_fma_f16 v43, v5, v68, v43
	v_mul_f16_sdwa v68, v5, v68 dst_sel:DWORD dst_unused:UNUSED_PAD src0_sel:WORD_1 src1_sel:DWORD
	v_fma_f16 v5, v5, v80, -v68
	v_mul_f16_sdwa v68, v9, v82 dst_sel:DWORD dst_unused:UNUSED_PAD src0_sel:WORD_1 src1_sel:DWORD
	;; [unrolled: 5-line block ×3, first 2 shown]
	v_lshrrev_b32_e32 v84, 16, v69
	v_fma_f16 v36, v10, v44, v36
	v_mul_f16_sdwa v44, v10, v44 dst_sel:DWORD dst_unused:UNUSED_PAD src0_sel:WORD_1 src1_sel:DWORD
	v_lshrrev_b32_e32 v37, 16, v25
	v_fma_f16 v10, v10, v83, -v44
	v_mul_f16_sdwa v44, v11, v84 dst_sel:DWORD dst_unused:UNUSED_PAD src0_sel:WORD_1 src1_sel:DWORD
	v_fma_f16 v44, v11, v69, v44
	v_mul_f16_sdwa v69, v11, v69 dst_sel:DWORD dst_unused:UNUSED_PAD src0_sel:WORD_1 src1_sel:DWORD
	v_sub_f16_e32 v27, v25, v27
	v_sub_f16_e32 v7, v37, v7
	v_sub_f16_e32 v29, v85, v29
	v_sub_f16_e32 v8, v6, v8
	v_lshrrev_b32_e32 v73, 16, v26
	v_fma_f16 v11, v11, v84, -v69
	v_fma_f16 v25, v25, 2.0, -v27
	v_fma_f16 v37, v37, 2.0, -v7
	;; [unrolled: 1-line block ×4, first 2 shown]
	v_sub_f16_e32 v69, v25, v69
	v_sub_f16_e32 v6, v37, v6
	v_add_f16_e32 v8, v27, v8
	v_sub_f16_e32 v29, v7, v29
	v_sub_f16_e32 v28, v26, v28
	;; [unrolled: 1-line block ×5, first 2 shown]
	v_lshrrev_b32_e32 v77, 16, v33
	v_fma_f16 v25, v25, 2.0, -v69
	v_fma_f16 v37, v37, 2.0, -v6
	;; [unrolled: 1-line block ×8, first 2 shown]
	v_sub_f16_e32 v31, v26, v31
	v_sub_f16_e32 v0, v70, v0
	v_add_f16_e32 v2, v28, v2
	v_sub_f16_e32 v30, v1, v30
	v_sub_f16_e32 v35, v33, v35
	v_sub_f16_e32 v4, v77, v4
	v_sub_f16_e32 v43, v32, v43
	v_sub_f16_e32 v5, v3, v5
	v_pack_b32_f16 v25, v25, v37
	v_pack_b32_f16 v7, v27, v7
	v_lshrrev_b32_e32 v81, 16, v34
	v_fma_f16 v26, v26, 2.0, -v31
	v_fma_f16 v70, v70, 2.0, -v0
	;; [unrolled: 1-line block ×8, first 2 shown]
	s_barrier
	ds_write2_b32 v47, v25, v7 offset1:17
	v_pack_b32_f16 v6, v69, v6
	v_pack_b32_f16 v7, v8, v29
	v_sub_f16_e32 v32, v33, v32
	v_sub_f16_e32 v3, v71, v3
	v_add_f16_e32 v5, v35, v5
	v_sub_f16_e32 v43, v4, v43
	v_sub_f16_e32 v36, v34, v36
	;; [unrolled: 1-line block ×5, first 2 shown]
	ds_write2_b32 v47, v6, v7 offset0:34 offset1:51
	v_pack_b32_f16 v6, v26, v70
	v_pack_b32_f16 v1, v28, v1
	v_fma_f16 v33, v33, 2.0, -v32
	v_fma_f16 v71, v71, 2.0, -v3
	;; [unrolled: 1-line block ×8, first 2 shown]
	ds_write2_b32 v48, v6, v1 offset1:17
	v_pack_b32_f16 v0, v31, v0
	v_pack_b32_f16 v1, v2, v30
	v_sub_f16_e32 v68, v34, v68
	v_sub_f16_e32 v9, v72, v9
	v_add_f16_e32 v11, v36, v11
	v_sub_f16_e32 v44, v10, v44
	ds_write2_b32 v48, v0, v1 offset0:34 offset1:51
	v_pack_b32_f16 v0, v33, v71
	v_pack_b32_f16 v1, v35, v4
	v_fma_f16 v34, v34, 2.0, -v68
	v_fma_f16 v72, v72, 2.0, -v9
	v_fma_f16 v36, v36, 2.0, -v11
	v_fma_f16 v10, v10, 2.0, -v44
	ds_write2_b32 v49, v0, v1 offset1:17
	v_pack_b32_f16 v0, v32, v3
	v_pack_b32_f16 v1, v5, v43
	ds_write2_b32 v49, v0, v1 offset0:34 offset1:51
	v_pack_b32_f16 v0, v34, v72
	v_pack_b32_f16 v1, v36, v10
	ds_write2_b32 v50, v0, v1 offset1:17
	v_pack_b32_f16 v0, v68, v9
	v_pack_b32_f16 v1, v11, v44
	ds_write2_b32 v50, v0, v1 offset0:34 offset1:51
	s_waitcnt lgkmcnt(0)
	s_barrier
	ds_read2_b32 v[0:1], v45 offset1:68
	ds_read2_b32 v[2:3], v22 offset0:16 offset1:84
	ds_read2_b32 v[4:5], v24 offset0:32 offset1:100
	;; [unrolled: 1-line block ×7, first 2 shown]
	s_waitcnt lgkmcnt(7)
	v_lshrrev_b32_e32 v29, 16, v0
	s_waitcnt lgkmcnt(6)
	v_lshrrev_b32_e32 v30, 16, v2
	v_mul_f16_sdwa v69, v12, v30 dst_sel:DWORD dst_unused:UNUSED_PAD src0_sel:WORD_1 src1_sel:DWORD
	s_waitcnt lgkmcnt(5)
	v_lshrrev_b32_e32 v31, 16, v4
	v_fma_f16 v69, v12, v2, v69
	v_mul_f16_sdwa v2, v12, v2 dst_sel:DWORD dst_unused:UNUSED_PAD src0_sel:WORD_1 src1_sel:DWORD
	v_fma_f16 v2, v12, v30, -v2
	v_mul_f16_sdwa v30, v13, v31 dst_sel:DWORD dst_unused:UNUSED_PAD src0_sel:WORD_1 src1_sel:DWORD
	s_waitcnt lgkmcnt(4)
	v_lshrrev_b32_e32 v32, 16, v6
	v_fma_f16 v30, v13, v4, v30
	v_mul_f16_sdwa v4, v13, v4 dst_sel:DWORD dst_unused:UNUSED_PAD src0_sel:WORD_1 src1_sel:DWORD
	v_fma_f16 v4, v13, v31, -v4
	v_mul_f16_sdwa v31, v14, v32 dst_sel:DWORD dst_unused:UNUSED_PAD src0_sel:WORD_1 src1_sel:DWORD
	v_lshrrev_b32_e32 v34, 16, v3
	v_fma_f16 v31, v14, v6, v31
	v_mul_f16_sdwa v6, v14, v6 dst_sel:DWORD dst_unused:UNUSED_PAD src0_sel:WORD_1 src1_sel:DWORD
	v_fma_f16 v6, v14, v32, -v6
	v_mul_f16_sdwa v32, v12, v34 dst_sel:DWORD dst_unused:UNUSED_PAD src0_sel:WORD_1 src1_sel:DWORD
	;; [unrolled: 5-line block ×4, first 2 shown]
	s_waitcnt lgkmcnt(2)
	v_lshrrev_b32_e32 v43, 16, v10
	v_fma_f16 v13, v14, v7, v13
	v_mul_f16_sdwa v7, v14, v7 dst_sel:DWORD dst_unused:UNUSED_PAD src0_sel:WORD_1 src1_sel:DWORD
	v_fma_f16 v7, v14, v36, -v7
	v_mul_f16_sdwa v14, v15, v43 dst_sel:DWORD dst_unused:UNUSED_PAD src0_sel:WORD_1 src1_sel:DWORD
	s_waitcnt lgkmcnt(1)
	v_lshrrev_b32_e32 v44, 16, v25
	v_fma_f16 v14, v15, v10, v14
	v_mul_f16_sdwa v10, v15, v10 dst_sel:DWORD dst_unused:UNUSED_PAD src0_sel:WORD_1 src1_sel:DWORD
	v_fma_f16 v10, v15, v43, -v10
	v_mul_f16_sdwa v15, v16, v44 dst_sel:DWORD dst_unused:UNUSED_PAD src0_sel:WORD_1 src1_sel:DWORD
	;; [unrolled: 6-line block ×3, first 2 shown]
	v_lshrrev_b32_e32 v49, 16, v11
	v_fma_f16 v25, v17, v27, v25
	v_mul_f16_sdwa v27, v17, v27 dst_sel:DWORD dst_unused:UNUSED_PAD src0_sel:WORD_1 src1_sel:DWORD
	v_fma_f16 v17, v17, v47, -v27
	v_mul_f16_sdwa v27, v18, v49 dst_sel:DWORD dst_unused:UNUSED_PAD src0_sel:WORD_1 src1_sel:DWORD
	v_lshrrev_b32_e32 v50, 16, v26
	v_fma_f16 v27, v18, v11, v27
	v_mul_f16_sdwa v11, v18, v11 dst_sel:DWORD dst_unused:UNUSED_PAD src0_sel:WORD_1 src1_sel:DWORD
	v_fma_f16 v11, v18, v49, -v11
	v_mul_f16_sdwa v18, v19, v50 dst_sel:DWORD dst_unused:UNUSED_PAD src0_sel:WORD_1 src1_sel:DWORD
	;; [unrolled: 5-line block ×3, first 2 shown]
	v_fma_f16 v26, v20, v28, v26
	v_mul_f16_sdwa v28, v20, v28 dst_sel:DWORD dst_unused:UNUSED_PAD src0_sel:WORD_1 src1_sel:DWORD
	v_fma_f16 v20, v20, v68, -v28
	v_sub_f16_e32 v28, v0, v30
	v_sub_f16_e32 v4, v29, v4
	;; [unrolled: 1-line block ×4, first 2 shown]
	v_lshrrev_b32_e32 v33, 16, v1
	v_fma_f16 v0, v0, 2.0, -v28
	v_fma_f16 v29, v29, 2.0, -v4
	v_fma_f16 v31, v69, 2.0, -v30
	v_fma_f16 v2, v2, 2.0, -v6
	v_sub_f16_e32 v31, v0, v31
	v_sub_f16_e32 v2, v29, v2
	v_add_f16_e32 v6, v28, v6
	v_sub_f16_e32 v30, v4, v30
	v_sub_f16_e32 v12, v1, v12
	;; [unrolled: 1-line block ×5, first 2 shown]
	v_lshrrev_b32_e32 v37, 16, v8
	v_fma_f16 v0, v0, 2.0, -v31
	v_fma_f16 v29, v29, 2.0, -v2
	;; [unrolled: 1-line block ×8, first 2 shown]
	v_sub_f16_e32 v32, v1, v32
	v_sub_f16_e32 v3, v33, v3
	v_add_f16_e32 v7, v12, v7
	v_sub_f16_e32 v13, v5, v13
	v_sub_f16_e32 v15, v8, v15
	;; [unrolled: 1-line block ×5, first 2 shown]
	v_pack_b32_f16 v0, v0, v29
	v_pack_b32_f16 v4, v28, v4
	v_lshrrev_b32_e32 v48, 16, v9
	v_fma_f16 v1, v1, 2.0, -v32
	v_fma_f16 v33, v33, 2.0, -v3
	;; [unrolled: 1-line block ×8, first 2 shown]
	s_barrier
	ds_write2_b32 v45, v0, v4 offset1:68
	v_pack_b32_f16 v0, v31, v2
	v_pack_b32_f16 v2, v6, v30
	v_sub_f16_e32 v14, v8, v14
	v_sub_f16_e32 v10, v34, v10
	v_add_f16_e32 v17, v15, v17
	v_sub_f16_e32 v25, v16, v25
	v_sub_f16_e32 v18, v9, v18
	;; [unrolled: 1-line block ×5, first 2 shown]
	ds_write2_b32 v45, v0, v2 offset0:136 offset1:204
	v_pack_b32_f16 v0, v1, v33
	v_pack_b32_f16 v1, v12, v5
	v_fma_f16 v8, v8, 2.0, -v14
	v_fma_f16 v34, v34, 2.0, -v10
	;; [unrolled: 1-line block ×8, first 2 shown]
	ds_write2_b32 v22, v0, v1 offset0:16 offset1:84
	v_pack_b32_f16 v0, v32, v3
	v_pack_b32_f16 v1, v7, v13
	v_sub_f16_e32 v27, v9, v27
	v_sub_f16_e32 v11, v35, v11
	v_add_f16_e32 v20, v18, v20
	v_sub_f16_e32 v26, v19, v26
	ds_write2_b32 v22, v0, v1 offset0:152 offset1:220
	v_pack_b32_f16 v0, v8, v34
	v_pack_b32_f16 v1, v15, v16
	v_add_u32_e32 v2, 0x800, v55
	v_fma_f16 v9, v9, 2.0, -v27
	v_fma_f16 v35, v35, 2.0, -v11
	;; [unrolled: 1-line block ×4, first 2 shown]
	ds_write2_b32 v2, v0, v1 offset0:32 offset1:100
	v_pack_b32_f16 v0, v14, v10
	v_pack_b32_f16 v1, v17, v25
	ds_write2_b32 v2, v0, v1 offset0:168 offset1:236
	v_pack_b32_f16 v0, v9, v35
	v_pack_b32_f16 v1, v18, v19
	v_add_u32_e32 v2, 0xc00, v56
	ds_write2_b32 v2, v0, v1 offset0:48 offset1:116
	v_pack_b32_f16 v0, v27, v11
	v_pack_b32_f16 v1, v20, v26
	ds_write2_b32 v2, v0, v1 offset0:184 offset1:252
	s_waitcnt lgkmcnt(0)
	s_barrier
	ds_read2_b32 v[0:1], v45 offset1:68
	ds_read2_b32 v[2:3], v24 offset0:32 offset1:100
	ds_read2_b32 v[6:7], v24 offset0:168 offset1:236
	;; [unrolled: 1-line block ×5, first 2 shown]
	s_waitcnt lgkmcnt(4)
	v_lshrrev_b32_e32 v17, 16, v2
	v_mul_f16_sdwa v36, v51, v17 dst_sel:DWORD dst_unused:UNUSED_PAD src0_sel:WORD_1 src1_sel:DWORD
	v_lshrrev_b32_e32 v19, 16, v3
	v_fma_f16 v36, v51, v2, v36
	v_mul_f16_sdwa v2, v51, v2 dst_sel:DWORD dst_unused:UNUSED_PAD src0_sel:WORD_1 src1_sel:DWORD
	v_fma_f16 v2, v51, v17, -v2
	v_mul_f16_sdwa v17, v52, v19 dst_sel:DWORD dst_unused:UNUSED_PAD src0_sel:WORD_1 src1_sel:DWORD
	s_waitcnt lgkmcnt(3)
	v_lshrrev_b32_e32 v25, 16, v6
	v_fma_f16 v17, v52, v3, v17
	v_mul_f16_sdwa v3, v52, v3 dst_sel:DWORD dst_unused:UNUSED_PAD src0_sel:WORD_1 src1_sel:DWORD
	v_fma_f16 v3, v52, v19, -v3
	v_mul_f16_sdwa v19, v53, v25 dst_sel:DWORD dst_unused:UNUSED_PAD src0_sel:WORD_1 src1_sel:DWORD
	v_lshrrev_b32_e32 v27, 16, v7
	v_fma_f16 v19, v53, v6, v19
	v_mul_f16_sdwa v6, v53, v6 dst_sel:DWORD dst_unused:UNUSED_PAD src0_sel:WORD_1 src1_sel:DWORD
	ds_read2_b32 v[12:13], v22 offset0:152 offset1:220
	ds_read2_b32 v[14:15], v23 offset0:184 offset1:252
	v_fma_f16 v6, v53, v25, -v6
	v_mul_f16_sdwa v25, v54, v27 dst_sel:DWORD dst_unused:UNUSED_PAD src0_sel:WORD_1 src1_sel:DWORD
	s_waitcnt lgkmcnt(4)
	v_lshrrev_b32_e32 v29, 16, v10
	v_fma_f16 v25, v54, v7, v25
	v_mul_f16_sdwa v7, v54, v7 dst_sel:DWORD dst_unused:UNUSED_PAD src0_sel:WORD_1 src1_sel:DWORD
	v_fma_f16 v7, v54, v27, -v7
	v_mul_f16_sdwa v27, v51, v29 dst_sel:DWORD dst_unused:UNUSED_PAD src0_sel:WORD_1 src1_sel:DWORD
	v_lshrrev_b32_e32 v31, 16, v11
	v_fma_f16 v27, v51, v10, v27
	v_mul_f16_sdwa v10, v51, v10 dst_sel:DWORD dst_unused:UNUSED_PAD src0_sel:WORD_1 src1_sel:DWORD
	v_fma_f16 v10, v51, v29, -v10
	v_mul_f16_sdwa v29, v52, v31 dst_sel:DWORD dst_unused:UNUSED_PAD src0_sel:WORD_1 src1_sel:DWORD
	s_waitcnt lgkmcnt(0)
	v_lshrrev_b32_e32 v33, 16, v14
	v_fma_f16 v29, v52, v11, v29
	v_mul_f16_sdwa v11, v52, v11 dst_sel:DWORD dst_unused:UNUSED_PAD src0_sel:WORD_1 src1_sel:DWORD
	v_fma_f16 v11, v52, v31, -v11
	v_mul_f16_sdwa v31, v53, v33 dst_sel:DWORD dst_unused:UNUSED_PAD src0_sel:WORD_1 src1_sel:DWORD
	v_lshrrev_b32_e32 v35, 16, v15
	v_fma_f16 v31, v53, v14, v31
	v_mul_f16_sdwa v14, v53, v14 dst_sel:DWORD dst_unused:UNUSED_PAD src0_sel:WORD_1 src1_sel:DWORD
	v_fma_f16 v14, v53, v33, -v14
	v_mul_f16_sdwa v33, v54, v35 dst_sel:DWORD dst_unused:UNUSED_PAD src0_sel:WORD_1 src1_sel:DWORD
	v_lshrrev_b32_e32 v16, 16, v0
	v_lshrrev_b32_e32 v18, 16, v1
	v_fma_f16 v33, v54, v15, v33
	v_mul_f16_sdwa v15, v54, v15 dst_sel:DWORD dst_unused:UNUSED_PAD src0_sel:WORD_1 src1_sel:DWORD
	v_fma_f16 v15, v54, v35, -v15
	v_sub_f16_e32 v35, v0, v36
	v_sub_f16_e32 v2, v16, v2
	;; [unrolled: 1-line block ×4, first 2 shown]
	v_lshrrev_b32_e32 v20, 16, v4
	v_lshrrev_b32_e32 v26, 16, v5
	v_fma_f16 v0, v0, 2.0, -v35
	v_fma_f16 v16, v16, 2.0, -v2
	;; [unrolled: 1-line block ×4, first 2 shown]
	v_sub_f16_e32 v19, v4, v19
	v_sub_f16_e32 v6, v20, v6
	;; [unrolled: 1-line block ×4, first 2 shown]
	v_pack_b32_f16 v0, v0, v16
	v_pack_b32_f16 v1, v1, v18
	v_lshrrev_b32_e32 v28, 16, v8
	v_lshrrev_b32_e32 v30, 16, v9
	v_fma_f16 v4, v4, 2.0, -v19
	v_fma_f16 v20, v20, 2.0, -v6
	;; [unrolled: 1-line block ×4, first 2 shown]
	s_barrier
	v_pack_b32_f16 v2, v35, v2
	ds_write2_b32 v45, v0, v1 offset1:68
	v_pack_b32_f16 v0, v17, v3
	v_sub_f16_e32 v27, v8, v27
	v_sub_f16_e32 v10, v28, v10
	;; [unrolled: 1-line block ×4, first 2 shown]
	ds_write2_b32 v22, v2, v0 offset0:16 offset1:84
	v_pack_b32_f16 v0, v4, v20
	v_pack_b32_f16 v2, v5, v26
	v_lshrrev_b32_e32 v32, 16, v12
	v_lshrrev_b32_e32 v34, 16, v13
	v_fma_f16 v8, v8, 2.0, -v27
	v_fma_f16 v28, v28, 2.0, -v10
	;; [unrolled: 1-line block ×4, first 2 shown]
	v_pack_b32_f16 v1, v19, v6
	ds_write2_b32 v45, v0, v2 offset0:136 offset1:204
	v_pack_b32_f16 v0, v25, v7
	v_sub_f16_e32 v31, v12, v31
	v_sub_f16_e32 v14, v32, v14
	;; [unrolled: 1-line block ×4, first 2 shown]
	ds_write2_b32 v22, v1, v0 offset0:152 offset1:220
	v_pack_b32_f16 v0, v8, v28
	v_pack_b32_f16 v2, v9, v30
	v_fma_f16 v12, v12, 2.0, -v31
	v_fma_f16 v32, v32, 2.0, -v14
	;; [unrolled: 1-line block ×4, first 2 shown]
	v_pack_b32_f16 v1, v27, v10
	ds_write2_b32 v24, v0, v2 offset0:32 offset1:100
	v_pack_b32_f16 v0, v29, v11
	ds_write2_b32 v23, v1, v0 offset0:48 offset1:116
	v_pack_b32_f16 v0, v12, v32
	v_pack_b32_f16 v2, v13, v34
	;; [unrolled: 1-line block ×3, first 2 shown]
	ds_write2_b32 v24, v0, v2 offset0:168 offset1:236
	v_pack_b32_f16 v0, v33, v15
	ds_write2_b32 v23, v1, v0 offset0:184 offset1:252
	s_waitcnt lgkmcnt(0)
	s_barrier
	ds_read2_b32 v[0:1], v45 offset1:68
	ds_read2_b32 v[2:3], v24 offset0:32 offset1:100
	ds_read2_b32 v[6:7], v24 offset0:168 offset1:236
	;; [unrolled: 1-line block ×5, first 2 shown]
	s_waitcnt lgkmcnt(4)
	v_lshrrev_b32_e32 v17, 16, v2
	v_mul_f16_sdwa v33, v57, v17 dst_sel:DWORD dst_unused:UNUSED_PAD src0_sel:WORD_1 src1_sel:DWORD
	v_lshrrev_b32_e32 v19, 16, v3
	v_fma_f16 v33, v57, v2, v33
	v_mul_f16_sdwa v2, v57, v2 dst_sel:DWORD dst_unused:UNUSED_PAD src0_sel:WORD_1 src1_sel:DWORD
	v_fma_f16 v2, v57, v17, -v2
	v_mul_f16_sdwa v17, v58, v19 dst_sel:DWORD dst_unused:UNUSED_PAD src0_sel:WORD_1 src1_sel:DWORD
	s_waitcnt lgkmcnt(3)
	v_lshrrev_b32_e32 v24, 16, v6
	v_fma_f16 v17, v58, v3, v17
	v_mul_f16_sdwa v3, v58, v3 dst_sel:DWORD dst_unused:UNUSED_PAD src0_sel:WORD_1 src1_sel:DWORD
	v_fma_f16 v3, v58, v19, -v3
	v_mul_f16_sdwa v19, v59, v24 dst_sel:DWORD dst_unused:UNUSED_PAD src0_sel:WORD_1 src1_sel:DWORD
	v_lshrrev_b32_e32 v26, 16, v7
	v_fma_f16 v19, v59, v6, v19
	v_mul_f16_sdwa v6, v59, v6 dst_sel:DWORD dst_unused:UNUSED_PAD src0_sel:WORD_1 src1_sel:DWORD
	ds_read2_b32 v[12:13], v22 offset0:152 offset1:220
	ds_read2_b32 v[14:15], v23 offset0:184 offset1:252
	v_fma_f16 v6, v59, v24, -v6
	v_mul_f16_sdwa v24, v60, v26 dst_sel:DWORD dst_unused:UNUSED_PAD src0_sel:WORD_1 src1_sel:DWORD
	s_waitcnt lgkmcnt(4)
	v_lshrrev_b32_e32 v22, 16, v10
	v_fma_f16 v24, v60, v7, v24
	v_mul_f16_sdwa v7, v60, v7 dst_sel:DWORD dst_unused:UNUSED_PAD src0_sel:WORD_1 src1_sel:DWORD
	v_fma_f16 v7, v60, v26, -v7
	v_mul_f16_sdwa v26, v61, v22 dst_sel:DWORD dst_unused:UNUSED_PAD src0_sel:WORD_1 src1_sel:DWORD
	v_lshrrev_b32_e32 v28, 16, v11
	v_fma_f16 v26, v61, v10, v26
	v_mul_f16_sdwa v10, v61, v10 dst_sel:DWORD dst_unused:UNUSED_PAD src0_sel:WORD_1 src1_sel:DWORD
	v_fma_f16 v10, v61, v22, -v10
	v_mul_f16_sdwa v22, v62, v28 dst_sel:DWORD dst_unused:UNUSED_PAD src0_sel:WORD_1 src1_sel:DWORD
	s_waitcnt lgkmcnt(0)
	v_lshrrev_b32_e32 v30, 16, v14
	v_fma_f16 v22, v62, v11, v22
	v_mul_f16_sdwa v11, v62, v11 dst_sel:DWORD dst_unused:UNUSED_PAD src0_sel:WORD_1 src1_sel:DWORD
	v_fma_f16 v11, v62, v28, -v11
	v_mul_f16_sdwa v28, v63, v30 dst_sel:DWORD dst_unused:UNUSED_PAD src0_sel:WORD_1 src1_sel:DWORD
	v_lshrrev_b32_e32 v32, 16, v15
	v_fma_f16 v28, v63, v14, v28
	v_mul_f16_sdwa v14, v63, v14 dst_sel:DWORD dst_unused:UNUSED_PAD src0_sel:WORD_1 src1_sel:DWORD
	v_fma_f16 v14, v63, v30, -v14
	v_mul_f16_sdwa v30, v64, v32 dst_sel:DWORD dst_unused:UNUSED_PAD src0_sel:WORD_1 src1_sel:DWORD
	v_lshrrev_b32_e32 v16, 16, v0
	v_lshrrev_b32_e32 v18, 16, v1
	v_fma_f16 v30, v64, v15, v30
	v_mul_f16_sdwa v15, v64, v15 dst_sel:DWORD dst_unused:UNUSED_PAD src0_sel:WORD_1 src1_sel:DWORD
	v_fma_f16 v15, v64, v32, -v15
	v_sub_f16_e32 v32, v0, v33
	v_sub_f16_e32 v2, v16, v2
	;; [unrolled: 1-line block ×4, first 2 shown]
	v_lshrrev_b32_e32 v20, 16, v4
	v_lshrrev_b32_e32 v25, 16, v5
	v_fma_f16 v0, v0, 2.0, -v32
	v_fma_f16 v16, v16, 2.0, -v2
	;; [unrolled: 1-line block ×4, first 2 shown]
	v_sub_f16_e32 v19, v4, v19
	v_sub_f16_e32 v6, v20, v6
	;; [unrolled: 1-line block ×4, first 2 shown]
	v_pack_b32_f16 v0, v0, v16
	v_pack_b32_f16 v1, v1, v18
	v_lshrrev_b32_e32 v27, 16, v8
	v_lshrrev_b32_e32 v23, 16, v9
	v_fma_f16 v4, v4, 2.0, -v19
	v_fma_f16 v20, v20, 2.0, -v6
	;; [unrolled: 1-line block ×4, first 2 shown]
	v_pack_b32_f16 v2, v32, v2
	ds_write2_b32 v65, v0, v1 offset1:68
	v_pack_b32_f16 v0, v17, v3
	v_add_u32_e32 v1, 0x800, v65
	v_sub_f16_e32 v26, v8, v26
	v_sub_f16_e32 v10, v27, v10
	;; [unrolled: 1-line block ×4, first 2 shown]
	ds_write2_b32 v1, v2, v0 offset0:32 offset1:100
	v_pack_b32_f16 v0, v4, v20
	v_pack_b32_f16 v3, v5, v25
	v_lshrrev_b32_e32 v29, 16, v12
	v_fma_f16 v8, v8, 2.0, -v26
	v_fma_f16 v27, v27, 2.0, -v10
	;; [unrolled: 1-line block ×4, first 2 shown]
	v_pack_b32_f16 v2, v19, v6
	ds_write2_b32 v65, v0, v3 offset0:136 offset1:204
	v_pack_b32_f16 v0, v24, v7
	v_sub_f16_e32 v28, v12, v28
	v_sub_f16_e32 v14, v29, v14
	ds_write2_b32 v1, v2, v0 offset0:168 offset1:236
	v_pack_b32_f16 v0, v8, v27
	v_pack_b32_f16 v2, v9, v23
	v_add_u32_e32 v3, 0x400, v65
	v_lshrrev_b32_e32 v31, 16, v13
	v_fma_f16 v12, v12, 2.0, -v28
	v_fma_f16 v29, v29, 2.0, -v14
	v_pack_b32_f16 v1, v26, v10
	ds_write2_b32 v3, v0, v2 offset0:16 offset1:84
	v_pack_b32_f16 v0, v22, v11
	v_add_u32_e32 v2, 0xc00, v65
	v_sub_f16_e32 v30, v13, v30
	v_sub_f16_e32 v15, v31, v15
	ds_write2_b32 v2, v1, v0 offset0:48 offset1:116
	v_pack_b32_f16 v0, v12, v29
	v_fma_f16 v13, v13, 2.0, -v30
	v_fma_f16 v31, v31, 2.0, -v15
	ds_write_b32 v65, v0 offset:1632
	v_pack_b32_f16 v0, v28, v14
	ds_write_b32 v67, v0 offset:2176
	v_pack_b32_f16 v0, v13, v31
	;; [unrolled: 2-line block ×3, first 2 shown]
	ds_write_b32 v66, v0 offset:2176
	s_waitcnt lgkmcnt(0)
	s_barrier
	s_and_b64 exec, exec, vcc
	s_cbranch_execz .LBB0_15
; %bb.14:
	global_load_dword v7, v39, s[6:7]
	v_mad_u64_u32 v[0:1], s[0:1], s10, v21, 0
	v_mad_u64_u32 v[2:3], s[0:1], s8, v38, 0
	ds_read_b32 v9, v42
	s_mov_b32 s14, 0x1e1e1e1e
	v_mad_u64_u32 v[4:5], s[0:1], s11, v21, v[1:2]
	s_mov_b32 s15, 0x3f4e1e1e
	v_mov_b32_e32 v10, s13
	v_mad_u64_u32 v[5:6], s[0:1], s9, v38, v[3:4]
	s_waitcnt lgkmcnt(0)
	v_lshrrev_b32_e32 v6, 16, v9
	v_mov_b32_e32 v1, v4
	v_mov_b32_e32 v3, v5
	v_lshlrev_b64 v[0:1], 2, v[0:1]
	v_lshlrev_b64 v[2:3], 2, v[2:3]
	s_movk_i32 s16, 0x1ff
	s_movk_i32 s10, 0xffe
	v_mov_b32_e32 v8, 0x7c00
	s_movk_i32 s18, 0x40f
	s_mov_b32 s17, 0x8000
	s_waitcnt vmcnt(0)
	v_mul_f16_sdwa v4, v6, v7 dst_sel:DWORD dst_unused:UNUSED_PAD src0_sel:DWORD src1_sel:WORD_1
	v_fma_f16 v4, v9, v7, v4
	v_mul_f16_sdwa v5, v9, v7 dst_sel:DWORD dst_unused:UNUSED_PAD src0_sel:DWORD src1_sel:WORD_1
	v_cvt_f32_f16_e32 v4, v4
	v_fma_f16 v5, v7, v6, -v5
	v_cvt_f32_f16_e32 v6, v5
	v_add_co_u32_e32 v9, vcc, s12, v0
	v_cvt_f64_f32_e32 v[4:5], v4
	v_cvt_f64_f32_e32 v[6:7], v6
	v_addc_co_u32_e32 v10, vcc, v10, v1, vcc
	v_mul_f64 v[4:5], v[4:5], s[14:15]
	v_mul_f64 v[0:1], v[6:7], s[14:15]
	v_add_co_u32_e32 v2, vcc, v9, v2
	v_addc_co_u32_e32 v3, vcc, v10, v3, vcc
	v_and_or_b32 v4, v5, s16, v4
	v_and_or_b32 v0, v1, s16, v0
	v_cmp_ne_u32_e32 vcc, 0, v4
	v_lshrrev_b32_e32 v6, 8, v5
	v_bfe_u32 v7, v5, 20, 11
	v_cndmask_b32_e64 v4, 0, 1, vcc
	v_cmp_ne_u32_e32 vcc, 0, v0
	v_lshrrev_b32_e32 v11, 8, v1
	v_bfe_u32 v12, v1, 20, 11
	v_sub_u32_e32 v13, 0x3f1, v7
	v_cndmask_b32_e64 v0, 0, 1, vcc
	v_and_or_b32 v4, v6, s10, v4
	v_sub_u32_e32 v14, 0x3f1, v12
	v_med3_i32 v6, v13, 0, 13
	v_and_or_b32 v0, v11, s10, v0
	v_or_b32_e32 v13, 0x1000, v4
	v_add_u32_e32 v7, 0xfffffc10, v7
	v_med3_i32 v11, v14, 0, 13
	v_cmp_ne_u32_e32 vcc, 0, v4
	v_or_b32_e32 v15, 0x1000, v0
	v_lshrrev_b32_e32 v17, v6, v13
	v_add_u32_e32 v12, 0xfffffc10, v12
	v_lshl_or_b32 v14, v7, 12, v4
	v_cndmask_b32_e64 v4, 0, 1, vcc
	v_cmp_ne_u32_e32 vcc, 0, v0
	v_lshrrev_b32_e32 v18, v11, v15
	v_lshlrev_b32_e32 v6, v6, v17
	v_lshl_or_b32 v16, v12, 12, v0
	v_cndmask_b32_e64 v0, 0, 1, vcc
	v_lshlrev_b32_e32 v11, v11, v18
	v_cmp_ne_u32_e32 vcc, v6, v13
	v_cndmask_b32_e64 v6, 0, 1, vcc
	v_cmp_ne_u32_e32 vcc, v11, v15
	v_cndmask_b32_e64 v11, 0, 1, vcc
	v_or_b32_e32 v6, v17, v6
	v_cmp_gt_i32_e32 vcc, 1, v7
	v_cndmask_b32_e32 v6, v14, v6, vcc
	v_or_b32_e32 v11, v18, v11
	v_cmp_gt_i32_e32 vcc, 1, v12
	v_and_b32_e32 v13, 7, v6
	v_cndmask_b32_e32 v11, v16, v11, vcc
	v_cmp_lt_i32_e32 vcc, 5, v13
	v_cmp_eq_u32_e64 s[0:1], 3, v13
	v_lshrrev_b32_e32 v6, 2, v6
	v_and_b32_e32 v14, 7, v11
	s_or_b64 vcc, s[0:1], vcc
	v_cmp_lt_i32_e64 s[2:3], 5, v14
	v_cmp_eq_u32_e64 s[4:5], 3, v14
	v_addc_co_u32_e32 v6, vcc, 0, v6, vcc
	v_lshrrev_b32_e32 v11, 2, v11
	s_or_b64 vcc, s[4:5], s[2:3]
	v_addc_co_u32_e32 v11, vcc, 0, v11, vcc
	v_cmp_gt_i32_e32 vcc, 31, v7
	v_cndmask_b32_e32 v6, v8, v6, vcc
	v_cmp_gt_i32_e32 vcc, 31, v12
	v_lshl_or_b32 v4, v4, 9, v8
	v_cndmask_b32_e32 v11, v8, v11, vcc
	v_cmp_eq_u32_e32 vcc, s18, v7
	v_lshrrev_b32_e32 v5, 16, v5
	v_lshl_or_b32 v0, v0, 9, v8
	v_cndmask_b32_e32 v4, v6, v4, vcc
	v_cmp_eq_u32_e32 vcc, s18, v12
	v_lshrrev_b32_e32 v1, 16, v1
	v_cndmask_b32_e32 v0, v11, v0, vcc
	v_and_or_b32 v4, v5, s17, v4
	v_and_or_b32 v0, v1, s17, v0
	v_and_b32_e32 v1, 0xffff, v4
	v_lshl_or_b32 v0, v0, 16, v1
	global_store_dword v[2:3], v0, off
	global_load_dword v12, v39, s[6:7] offset:256
	v_lshl_add_u32 v11, v41, 2, v46
	ds_read2st64_b32 v[6:7], v11 offset0:1 offset1:2
	ds_read2st64_b32 v[2:3], v11 offset0:3 offset1:4
	;; [unrolled: 1-line block ×4, first 2 shown]
	v_mad_u64_u32 v[13:14], s[0:1], s8, v40, 0
	s_waitcnt lgkmcnt(3)
	v_lshrrev_b32_e32 v15, 16, v6
	s_waitcnt vmcnt(0)
	v_mul_f16_sdwa v16, v15, v12 dst_sel:DWORD dst_unused:UNUSED_PAD src0_sel:DWORD src1_sel:WORD_1
	v_fma_f16 v16, v6, v12, v16
	v_cvt_f32_f16_e32 v16, v16
	v_mul_f16_sdwa v6, v6, v12 dst_sel:DWORD dst_unused:UNUSED_PAD src0_sel:DWORD src1_sel:WORD_1
	v_fma_f16 v6, v12, v15, -v6
	v_cvt_f32_f16_e32 v6, v6
	v_cvt_f64_f32_e32 v[15:16], v16
	v_mad_u64_u32 v[17:18], s[0:1], s9, v40, v[14:15]
	v_cvt_f64_f32_e32 v[18:19], v6
	v_mul_f64 v[15:16], v[15:16], s[14:15]
	v_mov_b32_e32 v14, v17
	v_lshlrev_b64 v[12:13], 2, v[13:14]
	v_mul_f64 v[17:18], v[18:19], s[14:15]
	v_add_co_u32_e32 v12, vcc, v9, v12
	v_addc_co_u32_e32 v13, vcc, v10, v13, vcc
	v_and_or_b32 v6, v16, s16, v15
	v_cmp_ne_u32_e32 vcc, 0, v6
	v_lshrrev_b32_e32 v14, 8, v16
	v_and_or_b32 v17, v18, s16, v17
	v_bfe_u32 v15, v16, 20, 11
	v_cndmask_b32_e64 v6, 0, 1, vcc
	v_cmp_ne_u32_e32 vcc, 0, v17
	v_lshrrev_b32_e32 v19, 8, v18
	v_bfe_u32 v20, v18, 20, 11
	v_sub_u32_e32 v21, 0x3f1, v15
	v_cndmask_b32_e64 v17, 0, 1, vcc
	v_and_or_b32 v6, v14, s10, v6
	v_sub_u32_e32 v22, 0x3f1, v20
	v_med3_i32 v14, v21, 0, 13
	v_and_or_b32 v17, v19, s10, v17
	v_or_b32_e32 v21, 0x1000, v6
	v_add_u32_e32 v15, 0xfffffc10, v15
	v_med3_i32 v19, v22, 0, 13
	v_cmp_ne_u32_e32 vcc, 0, v6
	v_or_b32_e32 v23, 0x1000, v17
	v_lshrrev_b32_e32 v25, v14, v21
	v_add_u32_e32 v20, 0xfffffc10, v20
	v_lshl_or_b32 v22, v15, 12, v6
	v_cndmask_b32_e64 v6, 0, 1, vcc
	v_cmp_ne_u32_e32 vcc, 0, v17
	v_lshrrev_b32_e32 v26, v19, v23
	v_lshlrev_b32_e32 v14, v14, v25
	v_lshl_or_b32 v24, v20, 12, v17
	v_cndmask_b32_e64 v17, 0, 1, vcc
	v_lshlrev_b32_e32 v19, v19, v26
	v_cmp_ne_u32_e32 vcc, v14, v21
	v_cndmask_b32_e64 v14, 0, 1, vcc
	v_cmp_ne_u32_e32 vcc, v19, v23
	v_cndmask_b32_e64 v19, 0, 1, vcc
	v_or_b32_e32 v14, v25, v14
	v_cmp_gt_i32_e32 vcc, 1, v15
	v_cndmask_b32_e32 v14, v22, v14, vcc
	v_or_b32_e32 v19, v26, v19
	v_cmp_gt_i32_e32 vcc, 1, v20
	v_and_b32_e32 v21, 7, v14
	v_cndmask_b32_e32 v19, v24, v19, vcc
	v_cmp_lt_i32_e32 vcc, 5, v21
	v_cmp_eq_u32_e64 s[0:1], 3, v21
	v_lshrrev_b32_e32 v14, 2, v14
	v_and_b32_e32 v22, 7, v19
	s_or_b64 vcc, s[0:1], vcc
	v_cmp_lt_i32_e64 s[2:3], 5, v22
	v_cmp_eq_u32_e64 s[4:5], 3, v22
	v_addc_co_u32_e32 v14, vcc, 0, v14, vcc
	v_lshrrev_b32_e32 v19, 2, v19
	s_or_b64 vcc, s[4:5], s[2:3]
	v_addc_co_u32_e32 v19, vcc, 0, v19, vcc
	v_cmp_gt_i32_e32 vcc, 31, v15
	v_cndmask_b32_e32 v14, v8, v14, vcc
	v_cmp_gt_i32_e32 vcc, 31, v20
	v_lshl_or_b32 v6, v6, 9, v8
	v_cndmask_b32_e32 v19, v8, v19, vcc
	v_cmp_eq_u32_e32 vcc, s18, v15
	v_lshrrev_b32_e32 v16, 16, v16
	v_lshl_or_b32 v17, v17, 9, v8
	v_cndmask_b32_e32 v6, v14, v6, vcc
	v_cmp_eq_u32_e32 vcc, s18, v20
	v_lshrrev_b32_e32 v18, 16, v18
	v_cndmask_b32_e32 v14, v19, v17, vcc
	v_and_or_b32 v6, v16, s17, v6
	v_and_or_b32 v14, v18, s17, v14
	v_and_b32_e32 v6, 0xffff, v6
	v_lshl_or_b32 v6, v14, 16, v6
	global_store_dword v[12:13], v6, off
	global_load_dword v14, v39, s[6:7] offset:512
	v_or_b32_e32 v15, 0x80, v38
	v_mad_u64_u32 v[12:13], s[0:1], s8, v15, 0
	v_mov_b32_e32 v6, v13
	v_lshrrev_b32_e32 v13, 16, v7
	s_waitcnt vmcnt(0)
	v_mul_f16_sdwa v16, v13, v14 dst_sel:DWORD dst_unused:UNUSED_PAD src0_sel:DWORD src1_sel:WORD_1
	v_fma_f16 v16, v7, v14, v16
	v_mul_f16_sdwa v7, v7, v14 dst_sel:DWORD dst_unused:UNUSED_PAD src0_sel:DWORD src1_sel:WORD_1
	v_cvt_f32_f16_e32 v16, v16
	v_fma_f16 v7, v14, v13, -v7
	v_cvt_f32_f16_e32 v17, v7
	v_mad_u64_u32 v[6:7], s[0:1], s9, v15, v[6:7]
	v_cvt_f64_f32_e32 v[13:14], v16
	v_cvt_f64_f32_e32 v[15:16], v17
	v_mul_f64 v[17:18], v[13:14], s[14:15]
	v_mov_b32_e32 v13, v6
	v_lshlrev_b64 v[6:7], 2, v[12:13]
	v_mul_f64 v[12:13], v[15:16], s[14:15]
	v_add_co_u32_e32 v6, vcc, v9, v6
	v_addc_co_u32_e32 v7, vcc, v10, v7, vcc
	v_and_or_b32 v14, v18, s16, v17
	v_cmp_ne_u32_e32 vcc, 0, v14
	v_lshrrev_b32_e32 v15, 8, v18
	v_and_or_b32 v12, v13, s16, v12
	v_bfe_u32 v16, v18, 20, 11
	v_cndmask_b32_e64 v14, 0, 1, vcc
	v_cmp_ne_u32_e32 vcc, 0, v12
	v_lshrrev_b32_e32 v17, 16, v18
	v_lshrrev_b32_e32 v18, 8, v13
	v_bfe_u32 v19, v13, 20, 11
	v_sub_u32_e32 v20, 0x3f1, v16
	v_cndmask_b32_e64 v12, 0, 1, vcc
	v_and_or_b32 v14, v15, s10, v14
	v_sub_u32_e32 v21, 0x3f1, v19
	v_med3_i32 v15, v20, 0, 13
	v_and_or_b32 v12, v18, s10, v12
	v_or_b32_e32 v20, 0x1000, v14
	v_add_u32_e32 v16, 0xfffffc10, v16
	v_med3_i32 v18, v21, 0, 13
	v_cmp_ne_u32_e32 vcc, 0, v14
	v_or_b32_e32 v22, 0x1000, v12
	v_lshrrev_b32_e32 v24, v15, v20
	v_add_u32_e32 v19, 0xfffffc10, v19
	v_lshl_or_b32 v21, v16, 12, v14
	v_cndmask_b32_e64 v14, 0, 1, vcc
	v_cmp_ne_u32_e32 vcc, 0, v12
	v_lshrrev_b32_e32 v25, v18, v22
	v_lshlrev_b32_e32 v15, v15, v24
	v_lshl_or_b32 v23, v19, 12, v12
	v_cndmask_b32_e64 v12, 0, 1, vcc
	v_lshlrev_b32_e32 v18, v18, v25
	v_cmp_ne_u32_e32 vcc, v15, v20
	v_cndmask_b32_e64 v15, 0, 1, vcc
	v_cmp_ne_u32_e32 vcc, v18, v22
	v_cndmask_b32_e64 v18, 0, 1, vcc
	v_or_b32_e32 v15, v24, v15
	v_cmp_gt_i32_e32 vcc, 1, v16
	v_cndmask_b32_e32 v15, v21, v15, vcc
	v_or_b32_e32 v18, v25, v18
	v_cmp_gt_i32_e32 vcc, 1, v19
	v_and_b32_e32 v20, 7, v15
	v_cndmask_b32_e32 v18, v23, v18, vcc
	v_cmp_lt_i32_e32 vcc, 5, v20
	v_cmp_eq_u32_e64 s[0:1], 3, v20
	v_lshrrev_b32_e32 v15, 2, v15
	v_and_b32_e32 v21, 7, v18
	s_or_b64 vcc, s[0:1], vcc
	v_cmp_lt_i32_e64 s[2:3], 5, v21
	v_cmp_eq_u32_e64 s[4:5], 3, v21
	v_addc_co_u32_e32 v15, vcc, 0, v15, vcc
	v_lshrrev_b32_e32 v18, 2, v18
	s_or_b64 vcc, s[4:5], s[2:3]
	v_addc_co_u32_e32 v18, vcc, 0, v18, vcc
	v_cmp_gt_i32_e32 vcc, 31, v16
	v_cndmask_b32_e32 v15, v8, v15, vcc
	v_cmp_gt_i32_e32 vcc, 31, v19
	v_lshl_or_b32 v14, v14, 9, v8
	v_cndmask_b32_e32 v18, v8, v18, vcc
	v_cmp_eq_u32_e32 vcc, s18, v16
	v_lshl_or_b32 v12, v12, 9, v8
	v_cndmask_b32_e32 v14, v15, v14, vcc
	v_cmp_eq_u32_e32 vcc, s18, v19
	v_lshrrev_b32_e32 v13, 16, v13
	v_cndmask_b32_e32 v12, v18, v12, vcc
	v_and_or_b32 v14, v17, s17, v14
	v_and_or_b32 v12, v13, s17, v12
	v_and_b32_e32 v13, 0xffff, v14
	v_lshl_or_b32 v12, v12, 16, v13
	global_store_dword v[6:7], v12, off
	global_load_dword v12, v39, s[6:7] offset:768
	s_waitcnt lgkmcnt(2)
	v_lshrrev_b32_e32 v13, 16, v2
	v_or_b32_e32 v14, 0xc0, v38
	v_mad_u64_u32 v[6:7], s[0:1], s8, v14, 0
	s_waitcnt vmcnt(0)
	v_mul_f16_sdwa v15, v13, v12 dst_sel:DWORD dst_unused:UNUSED_PAD src0_sel:DWORD src1_sel:WORD_1
	v_fma_f16 v15, v2, v12, v15
	v_mul_f16_sdwa v2, v2, v12 dst_sel:DWORD dst_unused:UNUSED_PAD src0_sel:DWORD src1_sel:WORD_1
	v_cvt_f32_f16_e32 v15, v15
	v_fma_f16 v2, v12, v13, -v2
	v_cvt_f32_f16_e32 v2, v2
	v_cvt_f64_f32_e32 v[12:13], v15
	v_mad_u64_u32 v[14:15], s[0:1], s9, v14, v[7:8]
	v_cvt_f64_f32_e32 v[15:16], v2
	v_mul_f64 v[12:13], v[12:13], s[14:15]
	v_mov_b32_e32 v7, v14
	v_lshlrev_b64 v[6:7], 2, v[6:7]
	v_mul_f64 v[14:15], v[15:16], s[14:15]
	v_add_co_u32_e32 v6, vcc, v9, v6
	v_addc_co_u32_e32 v7, vcc, v10, v7, vcc
	v_and_or_b32 v2, v13, s16, v12
	v_cmp_ne_u32_e32 vcc, 0, v2
	v_lshrrev_b32_e32 v12, 8, v13
	v_and_or_b32 v14, v15, s16, v14
	v_bfe_u32 v16, v13, 20, 11
	v_cndmask_b32_e64 v2, 0, 1, vcc
	v_cmp_ne_u32_e32 vcc, 0, v14
	v_lshrrev_b32_e32 v17, 8, v15
	v_bfe_u32 v18, v15, 20, 11
	v_sub_u32_e32 v19, 0x3f1, v16
	v_cndmask_b32_e64 v14, 0, 1, vcc
	v_and_or_b32 v2, v12, s10, v2
	v_sub_u32_e32 v20, 0x3f1, v18
	v_med3_i32 v12, v19, 0, 13
	v_and_or_b32 v14, v17, s10, v14
	v_or_b32_e32 v19, 0x1000, v2
	v_add_u32_e32 v16, 0xfffffc10, v16
	v_med3_i32 v17, v20, 0, 13
	v_cmp_ne_u32_e32 vcc, 0, v2
	v_or_b32_e32 v21, 0x1000, v14
	v_lshrrev_b32_e32 v23, v12, v19
	v_add_u32_e32 v18, 0xfffffc10, v18
	v_lshl_or_b32 v20, v16, 12, v2
	v_cndmask_b32_e64 v2, 0, 1, vcc
	v_cmp_ne_u32_e32 vcc, 0, v14
	v_lshrrev_b32_e32 v24, v17, v21
	v_lshlrev_b32_e32 v12, v12, v23
	v_lshl_or_b32 v22, v18, 12, v14
	v_cndmask_b32_e64 v14, 0, 1, vcc
	v_lshlrev_b32_e32 v17, v17, v24
	v_cmp_ne_u32_e32 vcc, v12, v19
	v_cndmask_b32_e64 v12, 0, 1, vcc
	v_cmp_ne_u32_e32 vcc, v17, v21
	v_cndmask_b32_e64 v17, 0, 1, vcc
	v_or_b32_e32 v12, v23, v12
	v_cmp_gt_i32_e32 vcc, 1, v16
	v_cndmask_b32_e32 v12, v20, v12, vcc
	v_or_b32_e32 v17, v24, v17
	v_cmp_gt_i32_e32 vcc, 1, v18
	v_and_b32_e32 v19, 7, v12
	v_cndmask_b32_e32 v17, v22, v17, vcc
	v_cmp_lt_i32_e32 vcc, 5, v19
	v_cmp_eq_u32_e64 s[0:1], 3, v19
	v_lshrrev_b32_e32 v12, 2, v12
	v_and_b32_e32 v20, 7, v17
	s_or_b64 vcc, s[0:1], vcc
	v_cmp_lt_i32_e64 s[2:3], 5, v20
	v_cmp_eq_u32_e64 s[4:5], 3, v20
	v_addc_co_u32_e32 v12, vcc, 0, v12, vcc
	v_lshrrev_b32_e32 v17, 2, v17
	s_or_b64 vcc, s[4:5], s[2:3]
	v_addc_co_u32_e32 v17, vcc, 0, v17, vcc
	v_cmp_gt_i32_e32 vcc, 31, v16
	v_cndmask_b32_e32 v12, v8, v12, vcc
	v_cmp_gt_i32_e32 vcc, 31, v18
	v_lshl_or_b32 v2, v2, 9, v8
	v_cndmask_b32_e32 v17, v8, v17, vcc
	v_cmp_eq_u32_e32 vcc, s18, v16
	v_lshrrev_b32_e32 v13, 16, v13
	v_lshl_or_b32 v14, v14, 9, v8
	v_cndmask_b32_e32 v2, v12, v2, vcc
	v_cmp_eq_u32_e32 vcc, s18, v18
	v_lshrrev_b32_e32 v15, 16, v15
	v_cndmask_b32_e32 v12, v17, v14, vcc
	v_and_or_b32 v2, v13, s17, v2
	v_and_or_b32 v12, v15, s17, v12
	v_and_b32_e32 v2, 0xffff, v2
	v_lshl_or_b32 v2, v12, 16, v2
	global_store_dword v[6:7], v2, off
	global_load_dword v12, v39, s[6:7] offset:1024
	v_or_b32_e32 v14, 0x100, v38
	v_mad_u64_u32 v[6:7], s[0:1], s8, v14, 0
	v_mov_b32_e32 v2, v7
	v_lshrrev_b32_e32 v7, 16, v3
	s_waitcnt vmcnt(0)
	v_mul_f16_sdwa v13, v7, v12 dst_sel:DWORD dst_unused:UNUSED_PAD src0_sel:DWORD src1_sel:WORD_1
	v_fma_f16 v13, v3, v12, v13
	v_mul_f16_sdwa v3, v3, v12 dst_sel:DWORD dst_unused:UNUSED_PAD src0_sel:DWORD src1_sel:WORD_1
	v_cvt_f32_f16_e32 v13, v13
	v_fma_f16 v3, v12, v7, -v3
	v_cvt_f32_f16_e32 v7, v3
	v_mad_u64_u32 v[2:3], s[0:1], s9, v14, v[2:3]
	v_cvt_f64_f32_e32 v[12:13], v13
	v_cvt_f64_f32_e32 v[14:15], v7
	v_mov_b32_e32 v7, v2
	v_lshlrev_b64 v[2:3], 2, v[6:7]
	v_mul_f64 v[12:13], v[12:13], s[14:15]
	v_mul_f64 v[6:7], v[14:15], s[14:15]
	v_add_co_u32_e32 v2, vcc, v9, v2
	v_addc_co_u32_e32 v3, vcc, v10, v3, vcc
	v_and_or_b32 v12, v13, s16, v12
	v_and_or_b32 v6, v7, s16, v6
	v_cmp_ne_u32_e32 vcc, 0, v12
	v_lshrrev_b32_e32 v14, 8, v13
	v_bfe_u32 v15, v13, 20, 11
	v_cndmask_b32_e64 v12, 0, 1, vcc
	v_cmp_ne_u32_e32 vcc, 0, v6
	v_lshrrev_b32_e32 v16, 8, v7
	v_bfe_u32 v17, v7, 20, 11
	v_sub_u32_e32 v18, 0x3f1, v15
	v_cndmask_b32_e64 v6, 0, 1, vcc
	v_and_or_b32 v12, v14, s10, v12
	v_sub_u32_e32 v19, 0x3f1, v17
	v_med3_i32 v14, v18, 0, 13
	v_and_or_b32 v6, v16, s10, v6
	v_or_b32_e32 v18, 0x1000, v12
	v_add_u32_e32 v15, 0xfffffc10, v15
	v_med3_i32 v16, v19, 0, 13
	v_cmp_ne_u32_e32 vcc, 0, v12
	v_or_b32_e32 v20, 0x1000, v6
	v_lshrrev_b32_e32 v22, v14, v18
	v_add_u32_e32 v17, 0xfffffc10, v17
	v_lshl_or_b32 v19, v15, 12, v12
	v_cndmask_b32_e64 v12, 0, 1, vcc
	v_cmp_ne_u32_e32 vcc, 0, v6
	v_lshrrev_b32_e32 v23, v16, v20
	v_lshlrev_b32_e32 v14, v14, v22
	v_lshl_or_b32 v21, v17, 12, v6
	v_cndmask_b32_e64 v6, 0, 1, vcc
	v_lshlrev_b32_e32 v16, v16, v23
	v_cmp_ne_u32_e32 vcc, v14, v18
	v_cndmask_b32_e64 v14, 0, 1, vcc
	v_cmp_ne_u32_e32 vcc, v16, v20
	v_cndmask_b32_e64 v16, 0, 1, vcc
	v_or_b32_e32 v14, v22, v14
	v_cmp_gt_i32_e32 vcc, 1, v15
	v_cndmask_b32_e32 v14, v19, v14, vcc
	v_or_b32_e32 v16, v23, v16
	v_cmp_gt_i32_e32 vcc, 1, v17
	v_and_b32_e32 v18, 7, v14
	v_cndmask_b32_e32 v16, v21, v16, vcc
	v_cmp_lt_i32_e32 vcc, 5, v18
	v_cmp_eq_u32_e64 s[0:1], 3, v18
	v_lshrrev_b32_e32 v14, 2, v14
	v_and_b32_e32 v19, 7, v16
	s_or_b64 vcc, s[0:1], vcc
	v_cmp_lt_i32_e64 s[2:3], 5, v19
	v_cmp_eq_u32_e64 s[4:5], 3, v19
	v_addc_co_u32_e32 v14, vcc, 0, v14, vcc
	v_lshrrev_b32_e32 v16, 2, v16
	s_or_b64 vcc, s[4:5], s[2:3]
	v_addc_co_u32_e32 v16, vcc, 0, v16, vcc
	v_cmp_gt_i32_e32 vcc, 31, v15
	v_cndmask_b32_e32 v14, v8, v14, vcc
	v_cmp_gt_i32_e32 vcc, 31, v17
	v_lshl_or_b32 v12, v12, 9, v8
	v_cndmask_b32_e32 v16, v8, v16, vcc
	v_cmp_eq_u32_e32 vcc, s18, v15
	v_lshrrev_b32_e32 v13, 16, v13
	v_lshl_or_b32 v6, v6, 9, v8
	v_cndmask_b32_e32 v12, v14, v12, vcc
	v_cmp_eq_u32_e32 vcc, s18, v17
	v_lshrrev_b32_e32 v7, 16, v7
	v_cndmask_b32_e32 v6, v16, v6, vcc
	v_and_or_b32 v12, v13, s17, v12
	v_and_or_b32 v6, v7, s17, v6
	v_and_b32_e32 v7, 0xffff, v12
	v_lshl_or_b32 v6, v6, 16, v7
	global_store_dword v[2:3], v6, off
	global_load_dword v6, v39, s[6:7] offset:1280
	s_waitcnt lgkmcnt(1)
	v_lshrrev_b32_e32 v7, 16, v4
	v_or_b32_e32 v12, 0x140, v38
	v_mad_u64_u32 v[2:3], s[0:1], s8, v12, 0
	s_waitcnt vmcnt(0)
	v_mul_f16_sdwa v13, v7, v6 dst_sel:DWORD dst_unused:UNUSED_PAD src0_sel:DWORD src1_sel:WORD_1
	v_fma_f16 v13, v4, v6, v13
	v_mul_f16_sdwa v4, v4, v6 dst_sel:DWORD dst_unused:UNUSED_PAD src0_sel:DWORD src1_sel:WORD_1
	v_cvt_f32_f16_e32 v13, v13
	v_fma_f16 v4, v6, v7, -v4
	v_cvt_f32_f16_e32 v14, v4
	v_mad_u64_u32 v[3:4], s[0:1], s9, v12, v[3:4]
	v_cvt_f64_f32_e32 v[6:7], v13
	v_cvt_f64_f32_e32 v[12:13], v14
	v_lshlrev_b64 v[2:3], 2, v[2:3]
	v_mul_f64 v[6:7], v[6:7], s[14:15]
	v_mul_f64 v[12:13], v[12:13], s[14:15]
	v_add_co_u32_e32 v2, vcc, v9, v2
	v_addc_co_u32_e32 v3, vcc, v10, v3, vcc
	v_and_or_b32 v4, v7, s16, v6
	v_and_or_b32 v12, v13, s16, v12
	v_cmp_ne_u32_e32 vcc, 0, v4
	v_lshrrev_b32_e32 v6, 8, v7
	v_bfe_u32 v14, v7, 20, 11
	v_cndmask_b32_e64 v4, 0, 1, vcc
	v_cmp_ne_u32_e32 vcc, 0, v12
	v_lshrrev_b32_e32 v15, 8, v13
	v_bfe_u32 v16, v13, 20, 11
	v_sub_u32_e32 v17, 0x3f1, v14
	v_cndmask_b32_e64 v12, 0, 1, vcc
	v_and_or_b32 v4, v6, s10, v4
	v_sub_u32_e32 v18, 0x3f1, v16
	v_med3_i32 v6, v17, 0, 13
	v_and_or_b32 v12, v15, s10, v12
	v_or_b32_e32 v17, 0x1000, v4
	v_add_u32_e32 v14, 0xfffffc10, v14
	v_med3_i32 v15, v18, 0, 13
	v_cmp_ne_u32_e32 vcc, 0, v4
	v_or_b32_e32 v19, 0x1000, v12
	v_lshrrev_b32_e32 v21, v6, v17
	v_add_u32_e32 v16, 0xfffffc10, v16
	v_lshl_or_b32 v18, v14, 12, v4
	v_cndmask_b32_e64 v4, 0, 1, vcc
	v_cmp_ne_u32_e32 vcc, 0, v12
	v_lshrrev_b32_e32 v22, v15, v19
	v_lshlrev_b32_e32 v6, v6, v21
	v_lshl_or_b32 v20, v16, 12, v12
	v_cndmask_b32_e64 v12, 0, 1, vcc
	v_lshlrev_b32_e32 v15, v15, v22
	v_cmp_ne_u32_e32 vcc, v6, v17
	v_cndmask_b32_e64 v6, 0, 1, vcc
	v_cmp_ne_u32_e32 vcc, v15, v19
	v_cndmask_b32_e64 v15, 0, 1, vcc
	v_or_b32_e32 v6, v21, v6
	v_cmp_gt_i32_e32 vcc, 1, v14
	v_cndmask_b32_e32 v6, v18, v6, vcc
	v_or_b32_e32 v15, v22, v15
	v_cmp_gt_i32_e32 vcc, 1, v16
	v_and_b32_e32 v17, 7, v6
	v_cndmask_b32_e32 v15, v20, v15, vcc
	v_cmp_lt_i32_e32 vcc, 5, v17
	v_cmp_eq_u32_e64 s[0:1], 3, v17
	v_lshrrev_b32_e32 v6, 2, v6
	v_and_b32_e32 v18, 7, v15
	s_or_b64 vcc, s[0:1], vcc
	v_cmp_lt_i32_e64 s[2:3], 5, v18
	v_cmp_eq_u32_e64 s[4:5], 3, v18
	v_addc_co_u32_e32 v6, vcc, 0, v6, vcc
	v_lshrrev_b32_e32 v15, 2, v15
	s_or_b64 vcc, s[4:5], s[2:3]
	v_addc_co_u32_e32 v15, vcc, 0, v15, vcc
	v_cmp_gt_i32_e32 vcc, 31, v14
	v_cndmask_b32_e32 v6, v8, v6, vcc
	v_cmp_gt_i32_e32 vcc, 31, v16
	v_lshl_or_b32 v4, v4, 9, v8
	v_cndmask_b32_e32 v15, v8, v15, vcc
	v_cmp_eq_u32_e32 vcc, s18, v14
	v_lshrrev_b32_e32 v7, 16, v7
	v_lshl_or_b32 v12, v12, 9, v8
	v_cndmask_b32_e32 v4, v6, v4, vcc
	v_cmp_eq_u32_e32 vcc, s18, v16
	v_lshrrev_b32_e32 v13, 16, v13
	v_cndmask_b32_e32 v6, v15, v12, vcc
	v_and_or_b32 v4, v7, s17, v4
	v_and_or_b32 v6, v13, s17, v6
	v_and_b32_e32 v4, 0xffff, v4
	v_lshl_or_b32 v4, v6, 16, v4
	global_store_dword v[2:3], v4, off
	global_load_dword v4, v39, s[6:7] offset:1536
	v_lshrrev_b32_e32 v7, 16, v5
	v_or_b32_e32 v6, 0x180, v38
	v_mad_u64_u32 v[2:3], s[0:1], s8, v6, 0
	s_waitcnt vmcnt(0)
	v_mul_f16_sdwa v12, v7, v4 dst_sel:DWORD dst_unused:UNUSED_PAD src0_sel:DWORD src1_sel:WORD_1
	v_fma_f16 v12, v5, v4, v12
	v_cvt_f32_f16_e32 v12, v12
	v_mul_f16_sdwa v5, v5, v4 dst_sel:DWORD dst_unused:UNUSED_PAD src0_sel:DWORD src1_sel:WORD_1
	v_fma_f16 v4, v4, v7, -v5
	v_cvt_f32_f16_e32 v13, v4
	v_cvt_f64_f32_e32 v[4:5], v12
	v_cvt_f64_f32_e32 v[12:13], v13
	v_mad_u64_u32 v[6:7], s[0:1], s9, v6, v[3:4]
	v_mul_f64 v[4:5], v[4:5], s[14:15]
	v_mov_b32_e32 v3, v6
	v_mul_f64 v[6:7], v[12:13], s[14:15]
	v_lshlrev_b64 v[2:3], 2, v[2:3]
	v_add_co_u32_e32 v2, vcc, v9, v2
	v_addc_co_u32_e32 v3, vcc, v10, v3, vcc
	v_and_or_b32 v4, v5, s16, v4
	v_and_or_b32 v6, v7, s16, v6
	v_cmp_ne_u32_e32 vcc, 0, v4
	v_lshrrev_b32_e32 v12, 8, v5
	v_bfe_u32 v13, v5, 20, 11
	v_cndmask_b32_e64 v4, 0, 1, vcc
	v_cmp_ne_u32_e32 vcc, 0, v6
	v_lshrrev_b32_e32 v14, 8, v7
	v_bfe_u32 v15, v7, 20, 11
	v_sub_u32_e32 v16, 0x3f1, v13
	v_cndmask_b32_e64 v6, 0, 1, vcc
	v_and_or_b32 v4, v12, s10, v4
	v_sub_u32_e32 v17, 0x3f1, v15
	v_med3_i32 v12, v16, 0, 13
	v_and_or_b32 v6, v14, s10, v6
	v_or_b32_e32 v16, 0x1000, v4
	v_add_u32_e32 v13, 0xfffffc10, v13
	v_med3_i32 v14, v17, 0, 13
	v_cmp_ne_u32_e32 vcc, 0, v4
	v_or_b32_e32 v18, 0x1000, v6
	v_lshrrev_b32_e32 v20, v12, v16
	v_add_u32_e32 v15, 0xfffffc10, v15
	v_lshl_or_b32 v17, v13, 12, v4
	v_cndmask_b32_e64 v4, 0, 1, vcc
	v_cmp_ne_u32_e32 vcc, 0, v6
	v_lshrrev_b32_e32 v21, v14, v18
	v_lshlrev_b32_e32 v12, v12, v20
	v_lshl_or_b32 v19, v15, 12, v6
	v_cndmask_b32_e64 v6, 0, 1, vcc
	v_lshlrev_b32_e32 v14, v14, v21
	v_cmp_ne_u32_e32 vcc, v12, v16
	v_cndmask_b32_e64 v12, 0, 1, vcc
	v_cmp_ne_u32_e32 vcc, v14, v18
	v_cndmask_b32_e64 v14, 0, 1, vcc
	v_or_b32_e32 v12, v20, v12
	v_cmp_gt_i32_e32 vcc, 1, v13
	v_cndmask_b32_e32 v12, v17, v12, vcc
	v_or_b32_e32 v14, v21, v14
	v_cmp_gt_i32_e32 vcc, 1, v15
	v_and_b32_e32 v16, 7, v12
	v_cndmask_b32_e32 v14, v19, v14, vcc
	v_cmp_lt_i32_e32 vcc, 5, v16
	v_cmp_eq_u32_e64 s[0:1], 3, v16
	v_lshrrev_b32_e32 v12, 2, v12
	v_and_b32_e32 v17, 7, v14
	s_or_b64 vcc, s[0:1], vcc
	v_cmp_lt_i32_e64 s[2:3], 5, v17
	v_cmp_eq_u32_e64 s[4:5], 3, v17
	v_addc_co_u32_e32 v12, vcc, 0, v12, vcc
	v_lshrrev_b32_e32 v14, 2, v14
	s_or_b64 vcc, s[4:5], s[2:3]
	v_addc_co_u32_e32 v14, vcc, 0, v14, vcc
	v_cmp_gt_i32_e32 vcc, 31, v13
	v_cndmask_b32_e32 v12, v8, v12, vcc
	v_cmp_gt_i32_e32 vcc, 31, v15
	v_lshl_or_b32 v4, v4, 9, v8
	v_cndmask_b32_e32 v14, v8, v14, vcc
	v_cmp_eq_u32_e32 vcc, s18, v13
	v_lshrrev_b32_e32 v5, 16, v5
	v_lshl_or_b32 v6, v6, 9, v8
	v_cndmask_b32_e32 v4, v12, v4, vcc
	v_cmp_eq_u32_e32 vcc, s18, v15
	v_lshrrev_b32_e32 v7, 16, v7
	v_cndmask_b32_e32 v6, v14, v6, vcc
	v_and_or_b32 v4, v5, s17, v4
	v_and_or_b32 v5, v7, s17, v6
	v_and_b32_e32 v4, 0xffff, v4
	v_lshl_or_b32 v4, v5, 16, v4
	global_store_dword v[2:3], v4, off
	global_load_dword v4, v39, s[6:7] offset:1792
	s_waitcnt lgkmcnt(0)
	v_lshrrev_b32_e32 v5, 16, v0
	v_or_b32_e32 v6, 0x1c0, v38
	v_mad_u64_u32 v[2:3], s[0:1], s8, v6, 0
	s_waitcnt vmcnt(0)
	v_mul_f16_sdwa v7, v5, v4 dst_sel:DWORD dst_unused:UNUSED_PAD src0_sel:DWORD src1_sel:WORD_1
	v_fma_f16 v7, v0, v4, v7
	v_cvt_f32_f16_e32 v7, v7
	v_mul_f16_sdwa v0, v0, v4 dst_sel:DWORD dst_unused:UNUSED_PAD src0_sel:DWORD src1_sel:WORD_1
	v_fma_f16 v0, v4, v5, -v0
	v_cvt_f32_f16_e32 v0, v0
	v_cvt_f64_f32_e32 v[4:5], v7
	v_cvt_f64_f32_e32 v[12:13], v0
	v_mad_u64_u32 v[6:7], s[0:1], s9, v6, v[3:4]
	v_mul_f64 v[4:5], v[4:5], s[14:15]
	v_mov_b32_e32 v3, v6
	v_mul_f64 v[6:7], v[12:13], s[14:15]
	v_lshlrev_b64 v[2:3], 2, v[2:3]
	v_add_co_u32_e32 v2, vcc, v9, v2
	v_addc_co_u32_e32 v3, vcc, v10, v3, vcc
	v_and_or_b32 v0, v5, s16, v4
	v_and_or_b32 v6, v7, s16, v6
	v_cmp_ne_u32_e32 vcc, 0, v0
	v_lshrrev_b32_e32 v4, 8, v5
	v_bfe_u32 v12, v5, 20, 11
	v_cndmask_b32_e64 v0, 0, 1, vcc
	v_cmp_ne_u32_e32 vcc, 0, v6
	v_lshrrev_b32_e32 v13, 8, v7
	v_bfe_u32 v14, v7, 20, 11
	v_sub_u32_e32 v15, 0x3f1, v12
	v_cndmask_b32_e64 v6, 0, 1, vcc
	v_and_or_b32 v0, v4, s10, v0
	v_sub_u32_e32 v16, 0x3f1, v14
	v_med3_i32 v4, v15, 0, 13
	v_and_or_b32 v6, v13, s10, v6
	v_or_b32_e32 v15, 0x1000, v0
	v_add_u32_e32 v12, 0xfffffc10, v12
	v_med3_i32 v13, v16, 0, 13
	v_cmp_ne_u32_e32 vcc, 0, v0
	v_or_b32_e32 v17, 0x1000, v6
	v_lshrrev_b32_e32 v19, v4, v15
	v_add_u32_e32 v14, 0xfffffc10, v14
	v_lshl_or_b32 v16, v12, 12, v0
	v_cndmask_b32_e64 v0, 0, 1, vcc
	v_cmp_ne_u32_e32 vcc, 0, v6
	v_lshrrev_b32_e32 v20, v13, v17
	v_lshlrev_b32_e32 v4, v4, v19
	v_lshl_or_b32 v18, v14, 12, v6
	v_cndmask_b32_e64 v6, 0, 1, vcc
	v_lshlrev_b32_e32 v13, v13, v20
	v_cmp_ne_u32_e32 vcc, v4, v15
	v_cndmask_b32_e64 v4, 0, 1, vcc
	v_cmp_ne_u32_e32 vcc, v13, v17
	v_cndmask_b32_e64 v13, 0, 1, vcc
	v_or_b32_e32 v4, v19, v4
	v_cmp_gt_i32_e32 vcc, 1, v12
	v_cndmask_b32_e32 v4, v16, v4, vcc
	v_or_b32_e32 v13, v20, v13
	v_cmp_gt_i32_e32 vcc, 1, v14
	v_and_b32_e32 v15, 7, v4
	v_cndmask_b32_e32 v13, v18, v13, vcc
	v_cmp_lt_i32_e32 vcc, 5, v15
	v_cmp_eq_u32_e64 s[0:1], 3, v15
	v_lshrrev_b32_e32 v4, 2, v4
	v_and_b32_e32 v16, 7, v13
	s_or_b64 vcc, s[0:1], vcc
	v_cmp_lt_i32_e64 s[2:3], 5, v16
	v_cmp_eq_u32_e64 s[4:5], 3, v16
	v_addc_co_u32_e32 v4, vcc, 0, v4, vcc
	v_lshrrev_b32_e32 v13, 2, v13
	s_or_b64 vcc, s[4:5], s[2:3]
	v_addc_co_u32_e32 v13, vcc, 0, v13, vcc
	v_cmp_gt_i32_e32 vcc, 31, v12
	v_cndmask_b32_e32 v4, v8, v4, vcc
	v_cmp_gt_i32_e32 vcc, 31, v14
	v_lshl_or_b32 v0, v0, 9, v8
	v_cndmask_b32_e32 v13, v8, v13, vcc
	v_cmp_eq_u32_e32 vcc, s18, v12
	v_lshrrev_b32_e32 v5, 16, v5
	v_lshl_or_b32 v6, v6, 9, v8
	v_cndmask_b32_e32 v0, v4, v0, vcc
	v_cmp_eq_u32_e32 vcc, s18, v14
	v_lshrrev_b32_e32 v7, 16, v7
	v_cndmask_b32_e32 v4, v13, v6, vcc
	v_and_or_b32 v0, v5, s17, v0
	v_and_or_b32 v4, v7, s17, v4
	v_and_b32_e32 v0, 0xffff, v0
	v_lshl_or_b32 v0, v4, 16, v0
	global_store_dword v[2:3], v0, off
	global_load_dword v4, v39, s[6:7] offset:2048
	v_or_b32_e32 v5, 0x200, v38
	v_mad_u64_u32 v[2:3], s[0:1], s8, v5, 0
	v_mov_b32_e32 v0, v3
	v_lshrrev_b32_e32 v3, 16, v1
	s_waitcnt vmcnt(0)
	v_mul_f16_sdwa v6, v3, v4 dst_sel:DWORD dst_unused:UNUSED_PAD src0_sel:DWORD src1_sel:WORD_1
	v_fma_f16 v6, v1, v4, v6
	v_mul_f16_sdwa v1, v1, v4 dst_sel:DWORD dst_unused:UNUSED_PAD src0_sel:DWORD src1_sel:WORD_1
	v_cvt_f32_f16_e32 v6, v6
	v_fma_f16 v1, v4, v3, -v1
	v_cvt_f32_f16_e32 v7, v1
	v_mad_u64_u32 v[0:1], s[0:1], s9, v5, v[0:1]
	v_cvt_f64_f32_e32 v[3:4], v6
	v_cvt_f64_f32_e32 v[5:6], v7
	v_mul_f64 v[12:13], v[3:4], s[14:15]
	v_mov_b32_e32 v3, v0
	v_lshlrev_b64 v[0:1], 2, v[2:3]
	v_mul_f64 v[2:3], v[5:6], s[14:15]
	v_add_co_u32_e32 v0, vcc, v9, v0
	v_addc_co_u32_e32 v1, vcc, v10, v1, vcc
	v_and_or_b32 v4, v13, s16, v12
	v_cmp_ne_u32_e32 vcc, 0, v4
	v_lshrrev_b32_e32 v5, 8, v13
	v_and_or_b32 v2, v3, s16, v2
	v_bfe_u32 v6, v13, 20, 11
	v_cndmask_b32_e64 v4, 0, 1, vcc
	v_cmp_ne_u32_e32 vcc, 0, v2
	v_lshrrev_b32_e32 v7, 16, v13
	v_lshrrev_b32_e32 v12, 8, v3
	v_bfe_u32 v13, v3, 20, 11
	v_sub_u32_e32 v14, 0x3f1, v6
	v_cndmask_b32_e64 v2, 0, 1, vcc
	v_and_or_b32 v4, v5, s10, v4
	v_sub_u32_e32 v15, 0x3f1, v13
	v_med3_i32 v5, v14, 0, 13
	v_and_or_b32 v2, v12, s10, v2
	v_or_b32_e32 v14, 0x1000, v4
	v_add_u32_e32 v6, 0xfffffc10, v6
	v_med3_i32 v12, v15, 0, 13
	v_cmp_ne_u32_e32 vcc, 0, v4
	v_or_b32_e32 v16, 0x1000, v2
	v_lshrrev_b32_e32 v18, v5, v14
	v_add_u32_e32 v13, 0xfffffc10, v13
	v_lshl_or_b32 v15, v6, 12, v4
	v_cndmask_b32_e64 v4, 0, 1, vcc
	v_cmp_ne_u32_e32 vcc, 0, v2
	v_lshrrev_b32_e32 v19, v12, v16
	v_lshlrev_b32_e32 v5, v5, v18
	v_lshl_or_b32 v17, v13, 12, v2
	v_cndmask_b32_e64 v2, 0, 1, vcc
	v_lshlrev_b32_e32 v12, v12, v19
	v_cmp_ne_u32_e32 vcc, v5, v14
	v_cndmask_b32_e64 v5, 0, 1, vcc
	v_cmp_ne_u32_e32 vcc, v12, v16
	v_cndmask_b32_e64 v12, 0, 1, vcc
	v_or_b32_e32 v5, v18, v5
	v_cmp_gt_i32_e32 vcc, 1, v6
	v_cndmask_b32_e32 v5, v15, v5, vcc
	v_or_b32_e32 v12, v19, v12
	v_cmp_gt_i32_e32 vcc, 1, v13
	v_and_b32_e32 v14, 7, v5
	v_cndmask_b32_e32 v12, v17, v12, vcc
	v_cmp_lt_i32_e32 vcc, 5, v14
	v_cmp_eq_u32_e64 s[0:1], 3, v14
	v_lshrrev_b32_e32 v5, 2, v5
	v_and_b32_e32 v15, 7, v12
	s_or_b64 vcc, s[0:1], vcc
	v_cmp_lt_i32_e64 s[2:3], 5, v15
	v_cmp_eq_u32_e64 s[4:5], 3, v15
	v_addc_co_u32_e32 v5, vcc, 0, v5, vcc
	v_lshrrev_b32_e32 v12, 2, v12
	s_or_b64 vcc, s[4:5], s[2:3]
	v_addc_co_u32_e32 v12, vcc, 0, v12, vcc
	v_cmp_gt_i32_e32 vcc, 31, v6
	v_cndmask_b32_e32 v5, v8, v5, vcc
	v_cmp_gt_i32_e32 vcc, 31, v13
	v_lshl_or_b32 v4, v4, 9, v8
	v_cndmask_b32_e32 v12, v8, v12, vcc
	v_cmp_eq_u32_e32 vcc, s18, v6
	v_lshl_or_b32 v2, v2, 9, v8
	v_cndmask_b32_e32 v4, v5, v4, vcc
	v_cmp_eq_u32_e32 vcc, s18, v13
	v_lshrrev_b32_e32 v3, 16, v3
	v_cndmask_b32_e32 v2, v12, v2, vcc
	v_and_or_b32 v4, v7, s17, v4
	v_and_or_b32 v2, v3, s17, v2
	v_and_b32_e32 v3, 0xffff, v4
	v_lshl_or_b32 v2, v2, 16, v3
	global_store_dword v[0:1], v2, off
	global_load_dword v13, v39, s[6:7] offset:2304
	v_or_b32_e32 v12, 0x240, v38
	v_mad_u64_u32 v[14:15], s[0:1], s8, v12, 0
	ds_read2st64_b32 v[6:7], v11 offset0:9 offset1:10
	ds_read2st64_b32 v[2:3], v11 offset0:11 offset1:12
	;; [unrolled: 1-line block ×4, first 2 shown]
	v_mov_b32_e32 v11, v15
	s_waitcnt lgkmcnt(3)
	v_lshrrev_b32_e32 v15, 16, v6
	v_mad_u64_u32 v[11:12], s[0:1], s9, v12, v[11:12]
	s_waitcnt vmcnt(0)
	v_mul_f16_sdwa v16, v15, v13 dst_sel:DWORD dst_unused:UNUSED_PAD src0_sel:DWORD src1_sel:WORD_1
	v_fma_f16 v16, v6, v13, v16
	v_mul_f16_sdwa v6, v6, v13 dst_sel:DWORD dst_unused:UNUSED_PAD src0_sel:DWORD src1_sel:WORD_1
	v_cvt_f32_f16_e32 v16, v16
	v_fma_f16 v6, v13, v15, -v6
	v_cvt_f32_f16_e32 v6, v6
	v_cvt_f64_f32_e32 v[15:16], v16
	v_cvt_f64_f32_e32 v[12:13], v6
	v_mul_f64 v[16:17], v[15:16], s[14:15]
	v_mov_b32_e32 v15, v11
	v_mul_f64 v[11:12], v[12:13], s[14:15]
	v_lshlrev_b64 v[14:15], 2, v[14:15]
	v_add_co_u32_e32 v13, vcc, v9, v14
	v_addc_co_u32_e32 v14, vcc, v10, v15, vcc
	v_and_or_b32 v6, v17, s16, v16
	v_and_or_b32 v11, v12, s16, v11
	v_cmp_ne_u32_e32 vcc, 0, v6
	v_lshrrev_b32_e32 v15, 8, v17
	v_bfe_u32 v16, v17, 20, 11
	v_cndmask_b32_e64 v6, 0, 1, vcc
	v_cmp_ne_u32_e32 vcc, 0, v11
	v_lshrrev_b32_e32 v18, 8, v12
	v_bfe_u32 v19, v12, 20, 11
	v_sub_u32_e32 v20, 0x3f1, v16
	v_cndmask_b32_e64 v11, 0, 1, vcc
	v_and_or_b32 v6, v15, s10, v6
	v_sub_u32_e32 v21, 0x3f1, v19
	v_med3_i32 v15, v20, 0, 13
	v_and_or_b32 v11, v18, s10, v11
	v_or_b32_e32 v20, 0x1000, v6
	v_add_u32_e32 v16, 0xfffffc10, v16
	v_med3_i32 v18, v21, 0, 13
	v_cmp_ne_u32_e32 vcc, 0, v6
	v_or_b32_e32 v22, 0x1000, v11
	v_lshrrev_b32_e32 v24, v15, v20
	v_add_u32_e32 v19, 0xfffffc10, v19
	v_lshl_or_b32 v21, v16, 12, v6
	v_cndmask_b32_e64 v6, 0, 1, vcc
	v_cmp_ne_u32_e32 vcc, 0, v11
	v_lshrrev_b32_e32 v25, v18, v22
	v_lshlrev_b32_e32 v15, v15, v24
	v_lshl_or_b32 v23, v19, 12, v11
	v_cndmask_b32_e64 v11, 0, 1, vcc
	v_lshlrev_b32_e32 v18, v18, v25
	v_cmp_ne_u32_e32 vcc, v15, v20
	v_cndmask_b32_e64 v15, 0, 1, vcc
	v_cmp_ne_u32_e32 vcc, v18, v22
	v_cndmask_b32_e64 v18, 0, 1, vcc
	v_or_b32_e32 v15, v24, v15
	v_cmp_gt_i32_e32 vcc, 1, v16
	v_cndmask_b32_e32 v15, v21, v15, vcc
	v_or_b32_e32 v18, v25, v18
	v_cmp_gt_i32_e32 vcc, 1, v19
	v_and_b32_e32 v20, 7, v15
	v_cndmask_b32_e32 v18, v23, v18, vcc
	v_cmp_lt_i32_e32 vcc, 5, v20
	v_cmp_eq_u32_e64 s[0:1], 3, v20
	v_lshrrev_b32_e32 v15, 2, v15
	v_and_b32_e32 v21, 7, v18
	s_or_b64 vcc, s[0:1], vcc
	v_cmp_lt_i32_e64 s[2:3], 5, v21
	v_cmp_eq_u32_e64 s[4:5], 3, v21
	v_addc_co_u32_e32 v15, vcc, 0, v15, vcc
	v_lshrrev_b32_e32 v18, 2, v18
	s_or_b64 vcc, s[4:5], s[2:3]
	v_addc_co_u32_e32 v18, vcc, 0, v18, vcc
	v_cmp_gt_i32_e32 vcc, 31, v16
	v_cndmask_b32_e32 v15, v8, v15, vcc
	v_cmp_gt_i32_e32 vcc, 31, v19
	v_lshl_or_b32 v6, v6, 9, v8
	v_cndmask_b32_e32 v18, v8, v18, vcc
	v_cmp_eq_u32_e32 vcc, s18, v16
	v_lshrrev_b32_e32 v17, 16, v17
	v_lshl_or_b32 v11, v11, 9, v8
	v_cndmask_b32_e32 v6, v15, v6, vcc
	v_cmp_eq_u32_e32 vcc, s18, v19
	v_lshrrev_b32_e32 v12, 16, v12
	v_cndmask_b32_e32 v11, v18, v11, vcc
	v_and_or_b32 v6, v17, s17, v6
	v_and_or_b32 v11, v12, s17, v11
	v_and_b32_e32 v6, 0xffff, v6
	v_lshl_or_b32 v6, v11, 16, v6
	global_store_dword v[13:14], v6, off
	global_load_dword v13, v39, s[6:7] offset:2560
	v_or_b32_e32 v14, 0x280, v38
	v_mad_u64_u32 v[11:12], s[0:1], s8, v14, 0
	v_mov_b32_e32 v6, v12
	v_lshrrev_b32_e32 v12, 16, v7
	s_waitcnt vmcnt(0)
	v_mul_f16_sdwa v15, v12, v13 dst_sel:DWORD dst_unused:UNUSED_PAD src0_sel:DWORD src1_sel:WORD_1
	v_fma_f16 v15, v7, v13, v15
	v_mul_f16_sdwa v7, v7, v13 dst_sel:DWORD dst_unused:UNUSED_PAD src0_sel:DWORD src1_sel:WORD_1
	v_cvt_f32_f16_e32 v15, v15
	v_fma_f16 v7, v13, v12, -v7
	v_cvt_f32_f16_e32 v16, v7
	v_mad_u64_u32 v[6:7], s[0:1], s9, v14, v[6:7]
	v_cvt_f64_f32_e32 v[12:13], v15
	v_cvt_f64_f32_e32 v[14:15], v16
	v_mul_f64 v[16:17], v[12:13], s[14:15]
	v_mov_b32_e32 v12, v6
	v_lshlrev_b64 v[6:7], 2, v[11:12]
	v_mul_f64 v[11:12], v[14:15], s[14:15]
	v_add_co_u32_e32 v6, vcc, v9, v6
	v_addc_co_u32_e32 v7, vcc, v10, v7, vcc
	v_and_or_b32 v13, v17, s16, v16
	v_cmp_ne_u32_e32 vcc, 0, v13
	v_lshrrev_b32_e32 v14, 8, v17
	v_and_or_b32 v11, v12, s16, v11
	v_bfe_u32 v15, v17, 20, 11
	v_cndmask_b32_e64 v13, 0, 1, vcc
	v_cmp_ne_u32_e32 vcc, 0, v11
	v_lshrrev_b32_e32 v16, 16, v17
	v_lshrrev_b32_e32 v17, 8, v12
	v_bfe_u32 v18, v12, 20, 11
	v_sub_u32_e32 v19, 0x3f1, v15
	v_cndmask_b32_e64 v11, 0, 1, vcc
	v_and_or_b32 v13, v14, s10, v13
	v_sub_u32_e32 v20, 0x3f1, v18
	v_med3_i32 v14, v19, 0, 13
	v_and_or_b32 v11, v17, s10, v11
	v_or_b32_e32 v19, 0x1000, v13
	v_add_u32_e32 v15, 0xfffffc10, v15
	v_med3_i32 v17, v20, 0, 13
	v_cmp_ne_u32_e32 vcc, 0, v13
	v_or_b32_e32 v21, 0x1000, v11
	v_lshrrev_b32_e32 v23, v14, v19
	v_add_u32_e32 v18, 0xfffffc10, v18
	v_lshl_or_b32 v20, v15, 12, v13
	v_cndmask_b32_e64 v13, 0, 1, vcc
	v_cmp_ne_u32_e32 vcc, 0, v11
	v_lshrrev_b32_e32 v24, v17, v21
	v_lshlrev_b32_e32 v14, v14, v23
	v_lshl_or_b32 v22, v18, 12, v11
	v_cndmask_b32_e64 v11, 0, 1, vcc
	v_lshlrev_b32_e32 v17, v17, v24
	v_cmp_ne_u32_e32 vcc, v14, v19
	v_cndmask_b32_e64 v14, 0, 1, vcc
	v_cmp_ne_u32_e32 vcc, v17, v21
	v_cndmask_b32_e64 v17, 0, 1, vcc
	v_or_b32_e32 v14, v23, v14
	v_cmp_gt_i32_e32 vcc, 1, v15
	v_cndmask_b32_e32 v14, v20, v14, vcc
	v_or_b32_e32 v17, v24, v17
	v_cmp_gt_i32_e32 vcc, 1, v18
	v_and_b32_e32 v19, 7, v14
	v_cndmask_b32_e32 v17, v22, v17, vcc
	v_cmp_lt_i32_e32 vcc, 5, v19
	v_cmp_eq_u32_e64 s[0:1], 3, v19
	v_lshrrev_b32_e32 v14, 2, v14
	v_and_b32_e32 v20, 7, v17
	s_or_b64 vcc, s[0:1], vcc
	v_cmp_lt_i32_e64 s[2:3], 5, v20
	v_cmp_eq_u32_e64 s[4:5], 3, v20
	v_addc_co_u32_e32 v14, vcc, 0, v14, vcc
	v_lshrrev_b32_e32 v17, 2, v17
	s_or_b64 vcc, s[4:5], s[2:3]
	v_addc_co_u32_e32 v17, vcc, 0, v17, vcc
	v_cmp_gt_i32_e32 vcc, 31, v15
	v_cndmask_b32_e32 v14, v8, v14, vcc
	v_cmp_gt_i32_e32 vcc, 31, v18
	v_lshl_or_b32 v13, v13, 9, v8
	v_cndmask_b32_e32 v17, v8, v17, vcc
	v_cmp_eq_u32_e32 vcc, s18, v15
	v_lshl_or_b32 v11, v11, 9, v8
	v_cndmask_b32_e32 v13, v14, v13, vcc
	v_cmp_eq_u32_e32 vcc, s18, v18
	v_lshrrev_b32_e32 v12, 16, v12
	v_cndmask_b32_e32 v11, v17, v11, vcc
	v_and_or_b32 v13, v16, s17, v13
	v_and_or_b32 v11, v12, s17, v11
	v_and_b32_e32 v12, 0xffff, v13
	v_lshl_or_b32 v11, v11, 16, v12
	global_store_dword v[6:7], v11, off
	global_load_dword v11, v39, s[6:7] offset:2816
	s_waitcnt lgkmcnt(2)
	v_lshrrev_b32_e32 v12, 16, v2
	v_or_b32_e32 v13, 0x2c0, v38
	v_mad_u64_u32 v[6:7], s[0:1], s8, v13, 0
	s_waitcnt vmcnt(0)
	v_mul_f16_sdwa v14, v12, v11 dst_sel:DWORD dst_unused:UNUSED_PAD src0_sel:DWORD src1_sel:WORD_1
	v_fma_f16 v14, v2, v11, v14
	v_mul_f16_sdwa v2, v2, v11 dst_sel:DWORD dst_unused:UNUSED_PAD src0_sel:DWORD src1_sel:WORD_1
	v_cvt_f32_f16_e32 v14, v14
	v_fma_f16 v2, v11, v12, -v2
	v_cvt_f32_f16_e32 v2, v2
	v_cvt_f64_f32_e32 v[11:12], v14
	v_mad_u64_u32 v[13:14], s[0:1], s9, v13, v[7:8]
	v_cvt_f64_f32_e32 v[14:15], v2
	v_mul_f64 v[11:12], v[11:12], s[14:15]
	v_mov_b32_e32 v7, v13
	v_lshlrev_b64 v[6:7], 2, v[6:7]
	v_mul_f64 v[13:14], v[14:15], s[14:15]
	v_add_co_u32_e32 v6, vcc, v9, v6
	v_addc_co_u32_e32 v7, vcc, v10, v7, vcc
	v_and_or_b32 v2, v12, s16, v11
	v_cmp_ne_u32_e32 vcc, 0, v2
	v_lshrrev_b32_e32 v11, 8, v12
	v_and_or_b32 v13, v14, s16, v13
	v_bfe_u32 v15, v12, 20, 11
	v_cndmask_b32_e64 v2, 0, 1, vcc
	v_cmp_ne_u32_e32 vcc, 0, v13
	v_lshrrev_b32_e32 v16, 8, v14
	v_bfe_u32 v17, v14, 20, 11
	v_sub_u32_e32 v18, 0x3f1, v15
	v_cndmask_b32_e64 v13, 0, 1, vcc
	v_and_or_b32 v2, v11, s10, v2
	v_sub_u32_e32 v19, 0x3f1, v17
	v_med3_i32 v11, v18, 0, 13
	v_and_or_b32 v13, v16, s10, v13
	v_or_b32_e32 v18, 0x1000, v2
	v_add_u32_e32 v15, 0xfffffc10, v15
	v_med3_i32 v16, v19, 0, 13
	v_cmp_ne_u32_e32 vcc, 0, v2
	v_or_b32_e32 v20, 0x1000, v13
	v_lshrrev_b32_e32 v22, v11, v18
	v_add_u32_e32 v17, 0xfffffc10, v17
	v_lshl_or_b32 v19, v15, 12, v2
	v_cndmask_b32_e64 v2, 0, 1, vcc
	v_cmp_ne_u32_e32 vcc, 0, v13
	v_lshrrev_b32_e32 v23, v16, v20
	v_lshlrev_b32_e32 v11, v11, v22
	v_lshl_or_b32 v21, v17, 12, v13
	v_cndmask_b32_e64 v13, 0, 1, vcc
	v_lshlrev_b32_e32 v16, v16, v23
	v_cmp_ne_u32_e32 vcc, v11, v18
	v_cndmask_b32_e64 v11, 0, 1, vcc
	v_cmp_ne_u32_e32 vcc, v16, v20
	v_cndmask_b32_e64 v16, 0, 1, vcc
	v_or_b32_e32 v11, v22, v11
	v_cmp_gt_i32_e32 vcc, 1, v15
	v_cndmask_b32_e32 v11, v19, v11, vcc
	v_or_b32_e32 v16, v23, v16
	v_cmp_gt_i32_e32 vcc, 1, v17
	v_and_b32_e32 v18, 7, v11
	v_cndmask_b32_e32 v16, v21, v16, vcc
	v_cmp_lt_i32_e32 vcc, 5, v18
	v_cmp_eq_u32_e64 s[0:1], 3, v18
	v_lshrrev_b32_e32 v11, 2, v11
	v_and_b32_e32 v19, 7, v16
	s_or_b64 vcc, s[0:1], vcc
	v_cmp_lt_i32_e64 s[2:3], 5, v19
	v_cmp_eq_u32_e64 s[4:5], 3, v19
	v_addc_co_u32_e32 v11, vcc, 0, v11, vcc
	v_lshrrev_b32_e32 v16, 2, v16
	s_or_b64 vcc, s[4:5], s[2:3]
	v_addc_co_u32_e32 v16, vcc, 0, v16, vcc
	v_cmp_gt_i32_e32 vcc, 31, v15
	v_cndmask_b32_e32 v11, v8, v11, vcc
	v_cmp_gt_i32_e32 vcc, 31, v17
	v_lshl_or_b32 v2, v2, 9, v8
	v_cndmask_b32_e32 v16, v8, v16, vcc
	v_cmp_eq_u32_e32 vcc, s18, v15
	v_lshrrev_b32_e32 v12, 16, v12
	v_lshl_or_b32 v13, v13, 9, v8
	v_cndmask_b32_e32 v2, v11, v2, vcc
	v_cmp_eq_u32_e32 vcc, s18, v17
	v_lshrrev_b32_e32 v14, 16, v14
	v_cndmask_b32_e32 v11, v16, v13, vcc
	v_and_or_b32 v2, v12, s17, v2
	v_and_or_b32 v11, v14, s17, v11
	v_and_b32_e32 v2, 0xffff, v2
	v_lshl_or_b32 v2, v11, 16, v2
	global_store_dword v[6:7], v2, off
	global_load_dword v11, v39, s[6:7] offset:3072
	v_or_b32_e32 v13, 0x300, v38
	v_mad_u64_u32 v[6:7], s[0:1], s8, v13, 0
	v_mov_b32_e32 v2, v7
	v_lshrrev_b32_e32 v7, 16, v3
	s_waitcnt vmcnt(0)
	v_mul_f16_sdwa v12, v7, v11 dst_sel:DWORD dst_unused:UNUSED_PAD src0_sel:DWORD src1_sel:WORD_1
	v_fma_f16 v12, v3, v11, v12
	v_mul_f16_sdwa v3, v3, v11 dst_sel:DWORD dst_unused:UNUSED_PAD src0_sel:DWORD src1_sel:WORD_1
	v_cvt_f32_f16_e32 v12, v12
	v_fma_f16 v3, v11, v7, -v3
	v_cvt_f32_f16_e32 v7, v3
	v_mad_u64_u32 v[2:3], s[0:1], s9, v13, v[2:3]
	v_cvt_f64_f32_e32 v[11:12], v12
	v_cvt_f64_f32_e32 v[13:14], v7
	v_mov_b32_e32 v7, v2
	v_lshlrev_b64 v[2:3], 2, v[6:7]
	v_mul_f64 v[11:12], v[11:12], s[14:15]
	v_mul_f64 v[6:7], v[13:14], s[14:15]
	v_add_co_u32_e32 v2, vcc, v9, v2
	v_addc_co_u32_e32 v3, vcc, v10, v3, vcc
	v_and_or_b32 v11, v12, s16, v11
	v_and_or_b32 v6, v7, s16, v6
	v_cmp_ne_u32_e32 vcc, 0, v11
	v_lshrrev_b32_e32 v13, 8, v12
	v_bfe_u32 v14, v12, 20, 11
	v_cndmask_b32_e64 v11, 0, 1, vcc
	v_cmp_ne_u32_e32 vcc, 0, v6
	v_lshrrev_b32_e32 v15, 8, v7
	v_bfe_u32 v16, v7, 20, 11
	v_sub_u32_e32 v17, 0x3f1, v14
	v_cndmask_b32_e64 v6, 0, 1, vcc
	v_and_or_b32 v11, v13, s10, v11
	v_sub_u32_e32 v18, 0x3f1, v16
	v_med3_i32 v13, v17, 0, 13
	v_and_or_b32 v6, v15, s10, v6
	v_or_b32_e32 v17, 0x1000, v11
	v_add_u32_e32 v14, 0xfffffc10, v14
	v_med3_i32 v15, v18, 0, 13
	v_cmp_ne_u32_e32 vcc, 0, v11
	v_or_b32_e32 v19, 0x1000, v6
	v_lshrrev_b32_e32 v21, v13, v17
	v_add_u32_e32 v16, 0xfffffc10, v16
	v_lshl_or_b32 v18, v14, 12, v11
	v_cndmask_b32_e64 v11, 0, 1, vcc
	v_cmp_ne_u32_e32 vcc, 0, v6
	v_lshrrev_b32_e32 v22, v15, v19
	v_lshlrev_b32_e32 v13, v13, v21
	v_lshl_or_b32 v20, v16, 12, v6
	v_cndmask_b32_e64 v6, 0, 1, vcc
	v_lshlrev_b32_e32 v15, v15, v22
	v_cmp_ne_u32_e32 vcc, v13, v17
	v_cndmask_b32_e64 v13, 0, 1, vcc
	v_cmp_ne_u32_e32 vcc, v15, v19
	v_cndmask_b32_e64 v15, 0, 1, vcc
	v_or_b32_e32 v13, v21, v13
	v_cmp_gt_i32_e32 vcc, 1, v14
	v_cndmask_b32_e32 v13, v18, v13, vcc
	v_or_b32_e32 v15, v22, v15
	v_cmp_gt_i32_e32 vcc, 1, v16
	v_and_b32_e32 v17, 7, v13
	v_cndmask_b32_e32 v15, v20, v15, vcc
	v_cmp_lt_i32_e32 vcc, 5, v17
	v_cmp_eq_u32_e64 s[0:1], 3, v17
	v_lshrrev_b32_e32 v13, 2, v13
	v_and_b32_e32 v18, 7, v15
	s_or_b64 vcc, s[0:1], vcc
	v_cmp_lt_i32_e64 s[2:3], 5, v18
	v_cmp_eq_u32_e64 s[4:5], 3, v18
	v_addc_co_u32_e32 v13, vcc, 0, v13, vcc
	v_lshrrev_b32_e32 v15, 2, v15
	s_or_b64 vcc, s[4:5], s[2:3]
	v_addc_co_u32_e32 v15, vcc, 0, v15, vcc
	v_cmp_gt_i32_e32 vcc, 31, v14
	v_cndmask_b32_e32 v13, v8, v13, vcc
	v_cmp_gt_i32_e32 vcc, 31, v16
	v_lshl_or_b32 v11, v11, 9, v8
	v_cndmask_b32_e32 v15, v8, v15, vcc
	v_cmp_eq_u32_e32 vcc, s18, v14
	v_lshrrev_b32_e32 v12, 16, v12
	v_lshl_or_b32 v6, v6, 9, v8
	v_cndmask_b32_e32 v11, v13, v11, vcc
	v_cmp_eq_u32_e32 vcc, s18, v16
	v_lshrrev_b32_e32 v7, 16, v7
	v_cndmask_b32_e32 v6, v15, v6, vcc
	v_and_or_b32 v11, v12, s17, v11
	v_and_or_b32 v6, v7, s17, v6
	v_and_b32_e32 v7, 0xffff, v11
	v_lshl_or_b32 v6, v6, 16, v7
	global_store_dword v[2:3], v6, off
	global_load_dword v6, v39, s[6:7] offset:3328
	s_waitcnt lgkmcnt(1)
	v_lshrrev_b32_e32 v7, 16, v4
	v_or_b32_e32 v11, 0x340, v38
	v_mad_u64_u32 v[2:3], s[0:1], s8, v11, 0
	s_waitcnt vmcnt(0)
	v_mul_f16_sdwa v12, v7, v6 dst_sel:DWORD dst_unused:UNUSED_PAD src0_sel:DWORD src1_sel:WORD_1
	v_fma_f16 v12, v4, v6, v12
	v_mul_f16_sdwa v4, v4, v6 dst_sel:DWORD dst_unused:UNUSED_PAD src0_sel:DWORD src1_sel:WORD_1
	v_cvt_f32_f16_e32 v12, v12
	v_fma_f16 v4, v6, v7, -v4
	v_cvt_f32_f16_e32 v13, v4
	v_mad_u64_u32 v[3:4], s[0:1], s9, v11, v[3:4]
	v_cvt_f64_f32_e32 v[6:7], v12
	v_cvt_f64_f32_e32 v[11:12], v13
	v_lshlrev_b64 v[2:3], 2, v[2:3]
	v_mul_f64 v[6:7], v[6:7], s[14:15]
	v_mul_f64 v[11:12], v[11:12], s[14:15]
	v_add_co_u32_e32 v2, vcc, v9, v2
	v_addc_co_u32_e32 v3, vcc, v10, v3, vcc
	v_and_or_b32 v4, v7, s16, v6
	v_and_or_b32 v11, v12, s16, v11
	v_cmp_ne_u32_e32 vcc, 0, v4
	v_lshrrev_b32_e32 v6, 8, v7
	v_bfe_u32 v13, v7, 20, 11
	v_cndmask_b32_e64 v4, 0, 1, vcc
	v_cmp_ne_u32_e32 vcc, 0, v11
	v_lshrrev_b32_e32 v14, 8, v12
	v_bfe_u32 v15, v12, 20, 11
	v_sub_u32_e32 v16, 0x3f1, v13
	v_cndmask_b32_e64 v11, 0, 1, vcc
	v_and_or_b32 v4, v6, s10, v4
	v_sub_u32_e32 v17, 0x3f1, v15
	v_med3_i32 v6, v16, 0, 13
	v_and_or_b32 v11, v14, s10, v11
	v_or_b32_e32 v16, 0x1000, v4
	v_add_u32_e32 v13, 0xfffffc10, v13
	v_med3_i32 v14, v17, 0, 13
	v_cmp_ne_u32_e32 vcc, 0, v4
	v_or_b32_e32 v18, 0x1000, v11
	v_lshrrev_b32_e32 v20, v6, v16
	v_add_u32_e32 v15, 0xfffffc10, v15
	v_lshl_or_b32 v17, v13, 12, v4
	v_cndmask_b32_e64 v4, 0, 1, vcc
	v_cmp_ne_u32_e32 vcc, 0, v11
	v_lshrrev_b32_e32 v21, v14, v18
	v_lshlrev_b32_e32 v6, v6, v20
	v_lshl_or_b32 v19, v15, 12, v11
	v_cndmask_b32_e64 v11, 0, 1, vcc
	v_lshlrev_b32_e32 v14, v14, v21
	v_cmp_ne_u32_e32 vcc, v6, v16
	v_cndmask_b32_e64 v6, 0, 1, vcc
	v_cmp_ne_u32_e32 vcc, v14, v18
	v_cndmask_b32_e64 v14, 0, 1, vcc
	v_or_b32_e32 v6, v20, v6
	v_cmp_gt_i32_e32 vcc, 1, v13
	v_cndmask_b32_e32 v6, v17, v6, vcc
	v_or_b32_e32 v14, v21, v14
	v_cmp_gt_i32_e32 vcc, 1, v15
	v_and_b32_e32 v16, 7, v6
	v_cndmask_b32_e32 v14, v19, v14, vcc
	v_cmp_lt_i32_e32 vcc, 5, v16
	v_cmp_eq_u32_e64 s[0:1], 3, v16
	v_lshrrev_b32_e32 v6, 2, v6
	v_and_b32_e32 v17, 7, v14
	s_or_b64 vcc, s[0:1], vcc
	v_cmp_lt_i32_e64 s[2:3], 5, v17
	v_cmp_eq_u32_e64 s[4:5], 3, v17
	v_addc_co_u32_e32 v6, vcc, 0, v6, vcc
	v_lshrrev_b32_e32 v14, 2, v14
	s_or_b64 vcc, s[4:5], s[2:3]
	v_addc_co_u32_e32 v14, vcc, 0, v14, vcc
	v_cmp_gt_i32_e32 vcc, 31, v13
	v_cndmask_b32_e32 v6, v8, v6, vcc
	v_cmp_gt_i32_e32 vcc, 31, v15
	v_lshl_or_b32 v4, v4, 9, v8
	v_cndmask_b32_e32 v14, v8, v14, vcc
	v_cmp_eq_u32_e32 vcc, s18, v13
	v_lshrrev_b32_e32 v7, 16, v7
	v_lshl_or_b32 v11, v11, 9, v8
	v_cndmask_b32_e32 v4, v6, v4, vcc
	v_cmp_eq_u32_e32 vcc, s18, v15
	v_lshrrev_b32_e32 v12, 16, v12
	v_cndmask_b32_e32 v6, v14, v11, vcc
	v_and_or_b32 v4, v7, s17, v4
	v_and_or_b32 v6, v12, s17, v6
	v_and_b32_e32 v4, 0xffff, v4
	v_lshl_or_b32 v4, v6, 16, v4
	global_store_dword v[2:3], v4, off
	global_load_dword v4, v39, s[6:7] offset:3584
	v_lshrrev_b32_e32 v7, 16, v5
	v_or_b32_e32 v6, 0x380, v38
	v_mad_u64_u32 v[2:3], s[0:1], s8, v6, 0
	s_waitcnt vmcnt(0)
	v_mul_f16_sdwa v11, v7, v4 dst_sel:DWORD dst_unused:UNUSED_PAD src0_sel:DWORD src1_sel:WORD_1
	v_fma_f16 v11, v5, v4, v11
	v_cvt_f32_f16_e32 v11, v11
	v_mul_f16_sdwa v5, v5, v4 dst_sel:DWORD dst_unused:UNUSED_PAD src0_sel:DWORD src1_sel:WORD_1
	v_fma_f16 v4, v4, v7, -v5
	v_cvt_f32_f16_e32 v12, v4
	v_cvt_f64_f32_e32 v[4:5], v11
	v_cvt_f64_f32_e32 v[11:12], v12
	v_mad_u64_u32 v[6:7], s[0:1], s9, v6, v[3:4]
	v_mul_f64 v[4:5], v[4:5], s[14:15]
	v_mov_b32_e32 v3, v6
	v_mul_f64 v[6:7], v[11:12], s[14:15]
	v_lshlrev_b64 v[2:3], 2, v[2:3]
	v_add_co_u32_e32 v2, vcc, v9, v2
	v_addc_co_u32_e32 v3, vcc, v10, v3, vcc
	v_and_or_b32 v4, v5, s16, v4
	v_and_or_b32 v6, v7, s16, v6
	v_cmp_ne_u32_e32 vcc, 0, v4
	v_lshrrev_b32_e32 v11, 8, v5
	v_bfe_u32 v12, v5, 20, 11
	v_cndmask_b32_e64 v4, 0, 1, vcc
	v_cmp_ne_u32_e32 vcc, 0, v6
	v_lshrrev_b32_e32 v13, 8, v7
	v_bfe_u32 v14, v7, 20, 11
	v_sub_u32_e32 v15, 0x3f1, v12
	v_cndmask_b32_e64 v6, 0, 1, vcc
	v_and_or_b32 v4, v11, s10, v4
	v_sub_u32_e32 v16, 0x3f1, v14
	v_med3_i32 v11, v15, 0, 13
	v_and_or_b32 v6, v13, s10, v6
	v_or_b32_e32 v15, 0x1000, v4
	v_add_u32_e32 v12, 0xfffffc10, v12
	v_med3_i32 v13, v16, 0, 13
	v_cmp_ne_u32_e32 vcc, 0, v4
	v_or_b32_e32 v17, 0x1000, v6
	v_lshrrev_b32_e32 v19, v11, v15
	v_add_u32_e32 v14, 0xfffffc10, v14
	v_lshl_or_b32 v16, v12, 12, v4
	v_cndmask_b32_e64 v4, 0, 1, vcc
	v_cmp_ne_u32_e32 vcc, 0, v6
	v_lshrrev_b32_e32 v20, v13, v17
	v_lshlrev_b32_e32 v11, v11, v19
	v_lshl_or_b32 v18, v14, 12, v6
	v_cndmask_b32_e64 v6, 0, 1, vcc
	v_lshlrev_b32_e32 v13, v13, v20
	v_cmp_ne_u32_e32 vcc, v11, v15
	v_cndmask_b32_e64 v11, 0, 1, vcc
	v_cmp_ne_u32_e32 vcc, v13, v17
	v_cndmask_b32_e64 v13, 0, 1, vcc
	v_or_b32_e32 v11, v19, v11
	v_cmp_gt_i32_e32 vcc, 1, v12
	v_cndmask_b32_e32 v11, v16, v11, vcc
	v_or_b32_e32 v13, v20, v13
	v_cmp_gt_i32_e32 vcc, 1, v14
	v_and_b32_e32 v15, 7, v11
	v_cndmask_b32_e32 v13, v18, v13, vcc
	v_cmp_lt_i32_e32 vcc, 5, v15
	v_cmp_eq_u32_e64 s[0:1], 3, v15
	v_lshrrev_b32_e32 v11, 2, v11
	v_and_b32_e32 v16, 7, v13
	s_or_b64 vcc, s[0:1], vcc
	v_cmp_lt_i32_e64 s[2:3], 5, v16
	v_cmp_eq_u32_e64 s[4:5], 3, v16
	v_addc_co_u32_e32 v11, vcc, 0, v11, vcc
	v_lshrrev_b32_e32 v13, 2, v13
	s_or_b64 vcc, s[4:5], s[2:3]
	v_addc_co_u32_e32 v13, vcc, 0, v13, vcc
	v_cmp_gt_i32_e32 vcc, 31, v12
	v_cndmask_b32_e32 v11, v8, v11, vcc
	v_cmp_gt_i32_e32 vcc, 31, v14
	v_lshl_or_b32 v4, v4, 9, v8
	v_cndmask_b32_e32 v13, v8, v13, vcc
	v_cmp_eq_u32_e32 vcc, s18, v12
	v_lshrrev_b32_e32 v5, 16, v5
	v_lshl_or_b32 v6, v6, 9, v8
	v_cndmask_b32_e32 v4, v11, v4, vcc
	v_cmp_eq_u32_e32 vcc, s18, v14
	v_lshrrev_b32_e32 v7, 16, v7
	v_cndmask_b32_e32 v6, v13, v6, vcc
	v_and_or_b32 v4, v5, s17, v4
	v_and_or_b32 v5, v7, s17, v6
	v_and_b32_e32 v4, 0xffff, v4
	v_lshl_or_b32 v4, v5, 16, v4
	global_store_dword v[2:3], v4, off
	global_load_dword v4, v39, s[6:7] offset:3840
	s_waitcnt lgkmcnt(0)
	v_lshrrev_b32_e32 v5, 16, v0
	v_or_b32_e32 v6, 0x3c0, v38
	v_mad_u64_u32 v[2:3], s[0:1], s8, v6, 0
	v_or_b32_e32 v13, 0x400, v38
	v_lshlrev_b32_e32 v14, 2, v13
	s_waitcnt vmcnt(0)
	v_mul_f16_sdwa v7, v5, v4 dst_sel:DWORD dst_unused:UNUSED_PAD src0_sel:DWORD src1_sel:WORD_1
	v_fma_f16 v7, v0, v4, v7
	v_cvt_f32_f16_e32 v7, v7
	v_mul_f16_sdwa v0, v0, v4 dst_sel:DWORD dst_unused:UNUSED_PAD src0_sel:DWORD src1_sel:WORD_1
	v_fma_f16 v0, v4, v5, -v0
	v_cvt_f32_f16_e32 v0, v0
	v_cvt_f64_f32_e32 v[4:5], v7
	v_cvt_f64_f32_e32 v[11:12], v0
	v_mad_u64_u32 v[6:7], s[0:1], s9, v6, v[3:4]
	v_mul_f64 v[4:5], v[4:5], s[14:15]
	v_mov_b32_e32 v3, v6
	v_mul_f64 v[6:7], v[11:12], s[14:15]
	v_lshlrev_b64 v[2:3], 2, v[2:3]
	v_add_co_u32_e32 v2, vcc, v9, v2
	v_addc_co_u32_e32 v3, vcc, v10, v3, vcc
	v_and_or_b32 v0, v5, s16, v4
	v_and_or_b32 v6, v7, s16, v6
	v_cmp_ne_u32_e32 vcc, 0, v0
	v_lshrrev_b32_e32 v4, 8, v5
	v_bfe_u32 v11, v5, 20, 11
	v_cndmask_b32_e64 v0, 0, 1, vcc
	v_cmp_ne_u32_e32 vcc, 0, v6
	v_lshrrev_b32_e32 v12, 8, v7
	v_bfe_u32 v15, v7, 20, 11
	v_sub_u32_e32 v16, 0x3f1, v11
	v_cndmask_b32_e64 v6, 0, 1, vcc
	v_and_or_b32 v0, v4, s10, v0
	v_sub_u32_e32 v17, 0x3f1, v15
	v_med3_i32 v4, v16, 0, 13
	v_and_or_b32 v6, v12, s10, v6
	v_or_b32_e32 v16, 0x1000, v0
	v_add_u32_e32 v11, 0xfffffc10, v11
	v_med3_i32 v12, v17, 0, 13
	v_cmp_ne_u32_e32 vcc, 0, v0
	v_or_b32_e32 v18, 0x1000, v6
	v_lshrrev_b32_e32 v20, v4, v16
	v_add_u32_e32 v15, 0xfffffc10, v15
	v_lshl_or_b32 v17, v11, 12, v0
	v_cndmask_b32_e64 v0, 0, 1, vcc
	v_cmp_ne_u32_e32 vcc, 0, v6
	v_lshrrev_b32_e32 v21, v12, v18
	v_lshlrev_b32_e32 v4, v4, v20
	v_lshl_or_b32 v19, v15, 12, v6
	v_cndmask_b32_e64 v6, 0, 1, vcc
	v_lshlrev_b32_e32 v12, v12, v21
	v_cmp_ne_u32_e32 vcc, v4, v16
	v_cndmask_b32_e64 v4, 0, 1, vcc
	v_cmp_ne_u32_e32 vcc, v12, v18
	v_cndmask_b32_e64 v12, 0, 1, vcc
	v_or_b32_e32 v4, v20, v4
	v_cmp_gt_i32_e32 vcc, 1, v11
	v_cndmask_b32_e32 v4, v17, v4, vcc
	v_or_b32_e32 v12, v21, v12
	v_cmp_gt_i32_e32 vcc, 1, v15
	v_and_b32_e32 v16, 7, v4
	v_cndmask_b32_e32 v12, v19, v12, vcc
	v_cmp_lt_i32_e32 vcc, 5, v16
	v_cmp_eq_u32_e64 s[0:1], 3, v16
	v_lshrrev_b32_e32 v4, 2, v4
	v_and_b32_e32 v17, 7, v12
	s_or_b64 vcc, s[0:1], vcc
	v_cmp_lt_i32_e64 s[2:3], 5, v17
	v_cmp_eq_u32_e64 s[4:5], 3, v17
	v_addc_co_u32_e32 v4, vcc, 0, v4, vcc
	v_lshrrev_b32_e32 v12, 2, v12
	s_or_b64 vcc, s[4:5], s[2:3]
	v_addc_co_u32_e32 v12, vcc, 0, v12, vcc
	v_cmp_gt_i32_e32 vcc, 31, v11
	v_cndmask_b32_e32 v4, v8, v4, vcc
	v_cmp_gt_i32_e32 vcc, 31, v15
	v_lshl_or_b32 v0, v0, 9, v8
	v_cndmask_b32_e32 v12, v8, v12, vcc
	v_cmp_eq_u32_e32 vcc, s18, v11
	v_lshrrev_b32_e32 v5, 16, v5
	v_lshl_or_b32 v6, v6, 9, v8
	v_cndmask_b32_e32 v0, v4, v0, vcc
	v_cmp_eq_u32_e32 vcc, s18, v15
	v_lshrrev_b32_e32 v7, 16, v7
	v_cndmask_b32_e32 v4, v12, v6, vcc
	v_and_or_b32 v0, v5, s17, v0
	v_and_or_b32 v4, v7, s17, v4
	v_and_b32_e32 v0, 0xffff, v0
	v_lshl_or_b32 v0, v4, 16, v0
	global_store_dword v[2:3], v0, off
	global_load_dword v0, v14, s[6:7]
	v_lshrrev_b32_e32 v4, 16, v1
	v_mad_u64_u32 v[2:3], s[0:1], s8, v13, 0
	s_waitcnt vmcnt(0)
	v_mul_f16_sdwa v5, v4, v0 dst_sel:DWORD dst_unused:UNUSED_PAD src0_sel:DWORD src1_sel:WORD_1
	v_fma_f16 v5, v1, v0, v5
	v_mul_f16_sdwa v1, v1, v0 dst_sel:DWORD dst_unused:UNUSED_PAD src0_sel:DWORD src1_sel:WORD_1
	v_cvt_f32_f16_e32 v5, v5
	v_fma_f16 v0, v0, v4, -v1
	v_cvt_f32_f16_e32 v4, v0
	v_cvt_f64_f32_e32 v[0:1], v5
	v_cvt_f64_f32_e32 v[4:5], v4
	v_mul_f64 v[0:1], v[0:1], s[14:15]
	v_mad_u64_u32 v[6:7], s[0:1], s9, v13, v[3:4]
	v_mul_f64 v[4:5], v[4:5], s[14:15]
	v_mov_b32_e32 v3, v6
	v_lshlrev_b64 v[2:3], 2, v[2:3]
	v_and_or_b32 v0, v1, s16, v0
	v_cmp_ne_u32_e32 vcc, 0, v0
	v_lshrrev_b32_e32 v6, 8, v1
	v_bfe_u32 v7, v1, 20, 11
	v_and_or_b32 v4, v5, s16, v4
	v_cndmask_b32_e64 v0, 0, 1, vcc
	v_cmp_ne_u32_e32 vcc, 0, v4
	v_lshrrev_b32_e32 v11, 8, v5
	v_bfe_u32 v12, v5, 20, 11
	v_sub_u32_e32 v13, 0x3f1, v7
	v_cndmask_b32_e64 v4, 0, 1, vcc
	v_and_or_b32 v0, v6, s10, v0
	v_sub_u32_e32 v14, 0x3f1, v12
	v_med3_i32 v6, v13, 0, 13
	v_and_or_b32 v4, v11, s10, v4
	v_or_b32_e32 v13, 0x1000, v0
	v_add_u32_e32 v7, 0xfffffc10, v7
	v_med3_i32 v11, v14, 0, 13
	v_cmp_ne_u32_e32 vcc, 0, v0
	v_or_b32_e32 v15, 0x1000, v4
	v_lshrrev_b32_e32 v17, v6, v13
	v_add_u32_e32 v12, 0xfffffc10, v12
	v_lshl_or_b32 v14, v7, 12, v0
	v_cndmask_b32_e64 v0, 0, 1, vcc
	v_cmp_ne_u32_e32 vcc, 0, v4
	v_lshrrev_b32_e32 v18, v11, v15
	v_lshlrev_b32_e32 v6, v6, v17
	v_lshl_or_b32 v16, v12, 12, v4
	v_cndmask_b32_e64 v4, 0, 1, vcc
	v_lshlrev_b32_e32 v11, v11, v18
	v_cmp_ne_u32_e32 vcc, v6, v13
	v_cndmask_b32_e64 v6, 0, 1, vcc
	v_cmp_ne_u32_e32 vcc, v11, v15
	v_cndmask_b32_e64 v11, 0, 1, vcc
	v_or_b32_e32 v6, v17, v6
	v_cmp_gt_i32_e32 vcc, 1, v7
	v_cndmask_b32_e32 v6, v14, v6, vcc
	v_or_b32_e32 v11, v18, v11
	v_cmp_gt_i32_e32 vcc, 1, v12
	v_and_b32_e32 v13, 7, v6
	v_cndmask_b32_e32 v11, v16, v11, vcc
	v_cmp_lt_i32_e32 vcc, 5, v13
	v_cmp_eq_u32_e64 s[0:1], 3, v13
	v_lshrrev_b32_e32 v6, 2, v6
	v_and_b32_e32 v14, 7, v11
	s_or_b64 vcc, s[0:1], vcc
	v_cmp_lt_i32_e64 s[2:3], 5, v14
	v_cmp_eq_u32_e64 s[4:5], 3, v14
	v_addc_co_u32_e32 v6, vcc, 0, v6, vcc
	v_lshrrev_b32_e32 v11, 2, v11
	s_or_b64 vcc, s[4:5], s[2:3]
	v_addc_co_u32_e32 v11, vcc, 0, v11, vcc
	v_cmp_gt_i32_e32 vcc, 31, v7
	v_cndmask_b32_e32 v6, v8, v6, vcc
	v_cmp_gt_i32_e32 vcc, 31, v12
	v_lshl_or_b32 v0, v0, 9, v8
	v_lshl_or_b32 v4, v4, 9, v8
	v_cndmask_b32_e32 v8, v8, v11, vcc
	v_cmp_eq_u32_e32 vcc, s18, v7
	v_lshrrev_b32_e32 v1, 16, v1
	v_cndmask_b32_e32 v0, v6, v0, vcc
	v_cmp_eq_u32_e32 vcc, s18, v12
	v_lshrrev_b32_e32 v5, 16, v5
	v_cndmask_b32_e32 v4, v8, v4, vcc
	v_and_or_b32 v0, v1, s17, v0
	v_and_or_b32 v1, v5, s17, v4
	v_and_b32_e32 v0, 0xffff, v0
	v_lshl_or_b32 v4, v1, 16, v0
	v_add_co_u32_e32 v0, vcc, v9, v2
	v_addc_co_u32_e32 v1, vcc, v10, v3, vcc
	global_store_dword v[0:1], v4, off
.LBB0_15:
	s_endpgm
	.section	.rodata,"a",@progbits
	.p2align	6, 0x0
	.amdhsa_kernel bluestein_single_back_len1088_dim1_half_op_CI_CI
		.amdhsa_group_segment_fixed_size 13056
		.amdhsa_private_segment_fixed_size 0
		.amdhsa_kernarg_size 104
		.amdhsa_user_sgpr_count 6
		.amdhsa_user_sgpr_private_segment_buffer 1
		.amdhsa_user_sgpr_dispatch_ptr 0
		.amdhsa_user_sgpr_queue_ptr 0
		.amdhsa_user_sgpr_kernarg_segment_ptr 1
		.amdhsa_user_sgpr_dispatch_id 0
		.amdhsa_user_sgpr_flat_scratch_init 0
		.amdhsa_user_sgpr_private_segment_size 0
		.amdhsa_uses_dynamic_stack 0
		.amdhsa_system_sgpr_private_segment_wavefront_offset 0
		.amdhsa_system_sgpr_workgroup_id_x 1
		.amdhsa_system_sgpr_workgroup_id_y 0
		.amdhsa_system_sgpr_workgroup_id_z 0
		.amdhsa_system_sgpr_workgroup_info 0
		.amdhsa_system_vgpr_workitem_id 0
		.amdhsa_next_free_vgpr 244
		.amdhsa_next_free_sgpr 35
		.amdhsa_reserve_vcc 1
		.amdhsa_reserve_flat_scratch 0
		.amdhsa_float_round_mode_32 0
		.amdhsa_float_round_mode_16_64 0
		.amdhsa_float_denorm_mode_32 3
		.amdhsa_float_denorm_mode_16_64 3
		.amdhsa_dx10_clamp 1
		.amdhsa_ieee_mode 1
		.amdhsa_fp16_overflow 0
		.amdhsa_exception_fp_ieee_invalid_op 0
		.amdhsa_exception_fp_denorm_src 0
		.amdhsa_exception_fp_ieee_div_zero 0
		.amdhsa_exception_fp_ieee_overflow 0
		.amdhsa_exception_fp_ieee_underflow 0
		.amdhsa_exception_fp_ieee_inexact 0
		.amdhsa_exception_int_div_zero 0
	.end_amdhsa_kernel
	.text
.Lfunc_end0:
	.size	bluestein_single_back_len1088_dim1_half_op_CI_CI, .Lfunc_end0-bluestein_single_back_len1088_dim1_half_op_CI_CI
                                        ; -- End function
	.section	.AMDGPU.csdata,"",@progbits
; Kernel info:
; codeLenInByte = 30964
; NumSgprs: 39
; NumVgprs: 244
; ScratchSize: 0
; MemoryBound: 0
; FloatMode: 240
; IeeeMode: 1
; LDSByteSize: 13056 bytes/workgroup (compile time only)
; SGPRBlocks: 4
; VGPRBlocks: 60
; NumSGPRsForWavesPerEU: 39
; NumVGPRsForWavesPerEU: 244
; Occupancy: 1
; WaveLimiterHint : 1
; COMPUTE_PGM_RSRC2:SCRATCH_EN: 0
; COMPUTE_PGM_RSRC2:USER_SGPR: 6
; COMPUTE_PGM_RSRC2:TRAP_HANDLER: 0
; COMPUTE_PGM_RSRC2:TGID_X_EN: 1
; COMPUTE_PGM_RSRC2:TGID_Y_EN: 0
; COMPUTE_PGM_RSRC2:TGID_Z_EN: 0
; COMPUTE_PGM_RSRC2:TIDIG_COMP_CNT: 0
	.type	__hip_cuid_26e98268de36279e,@object ; @__hip_cuid_26e98268de36279e
	.section	.bss,"aw",@nobits
	.globl	__hip_cuid_26e98268de36279e
__hip_cuid_26e98268de36279e:
	.byte	0                               ; 0x0
	.size	__hip_cuid_26e98268de36279e, 1

	.ident	"AMD clang version 19.0.0git (https://github.com/RadeonOpenCompute/llvm-project roc-6.4.0 25133 c7fe45cf4b819c5991fe208aaa96edf142730f1d)"
	.section	".note.GNU-stack","",@progbits
	.addrsig
	.addrsig_sym __hip_cuid_26e98268de36279e
	.amdgpu_metadata
---
amdhsa.kernels:
  - .args:
      - .actual_access:  read_only
        .address_space:  global
        .offset:         0
        .size:           8
        .value_kind:     global_buffer
      - .actual_access:  read_only
        .address_space:  global
        .offset:         8
        .size:           8
        .value_kind:     global_buffer
      - .actual_access:  read_only
        .address_space:  global
        .offset:         16
        .size:           8
        .value_kind:     global_buffer
      - .actual_access:  read_only
        .address_space:  global
        .offset:         24
        .size:           8
        .value_kind:     global_buffer
      - .actual_access:  read_only
        .address_space:  global
        .offset:         32
        .size:           8
        .value_kind:     global_buffer
      - .offset:         40
        .size:           8
        .value_kind:     by_value
      - .address_space:  global
        .offset:         48
        .size:           8
        .value_kind:     global_buffer
      - .address_space:  global
        .offset:         56
        .size:           8
        .value_kind:     global_buffer
      - .address_space:  global
        .offset:         64
        .size:           8
        .value_kind:     global_buffer
      - .address_space:  global
        .offset:         72
        .size:           8
        .value_kind:     global_buffer
      - .offset:         80
        .size:           4
        .value_kind:     by_value
      - .address_space:  global
        .offset:         88
        .size:           8
        .value_kind:     global_buffer
      - .address_space:  global
        .offset:         96
        .size:           8
        .value_kind:     global_buffer
    .group_segment_fixed_size: 13056
    .kernarg_segment_align: 8
    .kernarg_segment_size: 104
    .language:       OpenCL C
    .language_version:
      - 2
      - 0
    .max_flat_workgroup_size: 204
    .name:           bluestein_single_back_len1088_dim1_half_op_CI_CI
    .private_segment_fixed_size: 0
    .sgpr_count:     39
    .sgpr_spill_count: 0
    .symbol:         bluestein_single_back_len1088_dim1_half_op_CI_CI.kd
    .uniform_work_group_size: 1
    .uses_dynamic_stack: false
    .vgpr_count:     244
    .vgpr_spill_count: 0
    .wavefront_size: 64
amdhsa.target:   amdgcn-amd-amdhsa--gfx906
amdhsa.version:
  - 1
  - 2
...

	.end_amdgpu_metadata
